;; amdgpu-corpus repo=pytorch/pytorch kind=compiled arch=gfx1100 opt=O3
	.text
	.amdgcn_target "amdgcn-amd-amdhsa--gfx1100"
	.amdhsa_code_object_version 6
	.section	.text._ZN7rocprim17ROCPRIM_304000_NS6detail28radix_sort_block_sort_kernelINS1_36wrapped_radix_sort_block_sort_configINS0_13kernel_configILj256ELj4ELj4294967295EEEtN2at4cuda3cub6detail10OpaqueTypeILi8EEEEELb1EPKtPtPKSB_PSB_NS0_19identity_decomposerEEEvT1_T2_T3_T4_jT5_jj,"axG",@progbits,_ZN7rocprim17ROCPRIM_304000_NS6detail28radix_sort_block_sort_kernelINS1_36wrapped_radix_sort_block_sort_configINS0_13kernel_configILj256ELj4ELj4294967295EEEtN2at4cuda3cub6detail10OpaqueTypeILi8EEEEELb1EPKtPtPKSB_PSB_NS0_19identity_decomposerEEEvT1_T2_T3_T4_jT5_jj,comdat
	.protected	_ZN7rocprim17ROCPRIM_304000_NS6detail28radix_sort_block_sort_kernelINS1_36wrapped_radix_sort_block_sort_configINS0_13kernel_configILj256ELj4ELj4294967295EEEtN2at4cuda3cub6detail10OpaqueTypeILi8EEEEELb1EPKtPtPKSB_PSB_NS0_19identity_decomposerEEEvT1_T2_T3_T4_jT5_jj ; -- Begin function _ZN7rocprim17ROCPRIM_304000_NS6detail28radix_sort_block_sort_kernelINS1_36wrapped_radix_sort_block_sort_configINS0_13kernel_configILj256ELj4ELj4294967295EEEtN2at4cuda3cub6detail10OpaqueTypeILi8EEEEELb1EPKtPtPKSB_PSB_NS0_19identity_decomposerEEEvT1_T2_T3_T4_jT5_jj
	.globl	_ZN7rocprim17ROCPRIM_304000_NS6detail28radix_sort_block_sort_kernelINS1_36wrapped_radix_sort_block_sort_configINS0_13kernel_configILj256ELj4ELj4294967295EEEtN2at4cuda3cub6detail10OpaqueTypeILi8EEEEELb1EPKtPtPKSB_PSB_NS0_19identity_decomposerEEEvT1_T2_T3_T4_jT5_jj
	.p2align	8
	.type	_ZN7rocprim17ROCPRIM_304000_NS6detail28radix_sort_block_sort_kernelINS1_36wrapped_radix_sort_block_sort_configINS0_13kernel_configILj256ELj4ELj4294967295EEEtN2at4cuda3cub6detail10OpaqueTypeILi8EEEEELb1EPKtPtPKSB_PSB_NS0_19identity_decomposerEEEvT1_T2_T3_T4_jT5_jj,@function
_ZN7rocprim17ROCPRIM_304000_NS6detail28radix_sort_block_sort_kernelINS1_36wrapped_radix_sort_block_sort_configINS0_13kernel_configILj256ELj4ELj4294967295EEEtN2at4cuda3cub6detail10OpaqueTypeILi8EEEEELb1EPKtPtPKSB_PSB_NS0_19identity_decomposerEEEvT1_T2_T3_T4_jT5_jj: ; @_ZN7rocprim17ROCPRIM_304000_NS6detail28radix_sort_block_sort_kernelINS1_36wrapped_radix_sort_block_sort_configINS0_13kernel_configILj256ELj4ELj4294967295EEEtN2at4cuda3cub6detail10OpaqueTypeILi8EEEEELb1EPKtPtPKSB_PSB_NS0_19identity_decomposerEEEvT1_T2_T3_T4_jT5_jj
; %bb.0:
	s_clause 0x1
	s_load_b32 s2, s[0:1], 0x20
	s_load_b256 s[16:23], s[0:1], 0x0
	v_and_b32_e32 v8, 0x3ff, v0
	v_mbcnt_lo_u32_b32 v7, -1, 0
	s_lshl_b32 s24, s15, 10
	s_mov_b32 s25, 0
	s_delay_alu instid0(VALU_DEP_2) | instskip(NEXT) | instid1(VALU_DEP_2)
	v_lshlrev_b32_e32 v1, 2, v8
	v_lshlrev_b32_e32 v2, 1, v7
	v_lshlrev_b32_e32 v17, 3, v7
	s_delay_alu instid0(VALU_DEP_3) | instskip(NEXT) | instid1(VALU_DEP_1)
	v_and_b32_e32 v13, 0x380, v1
	v_lshlrev_b32_e32 v1, 1, v13
	v_lshlrev_b32_e32 v18, 3, v13
	v_add_nc_u32_e32 v15, v7, v13
	s_waitcnt lgkmcnt(0)
	s_lshr_b32 s3, s2, 10
	s_delay_alu instid0(SALU_CYCLE_1) | instskip(SKIP_2) | instid1(SALU_CYCLE_1)
	s_cmp_lg_u32 s15, s3
	s_cselect_b32 s28, -1, 0
	s_lshl_b64 s[26:27], s[24:25], 1
	s_add_u32 s4, s16, s26
	s_addc_u32 s5, s17, s27
	v_add_co_u32 v2, s4, s4, v2
	s_delay_alu instid0(VALU_DEP_1) | instskip(SKIP_1) | instid1(VALU_DEP_2)
	v_add_co_ci_u32_e64 v3, null, s5, 0, s4
	s_cmp_eq_u32 s15, s3
	v_add_co_u32 v11, vcc_lo, v2, v1
	s_delay_alu instid0(VALU_DEP_2)
	v_add_co_ci_u32_e32 v12, vcc_lo, 0, v3, vcc_lo
	s_mov_b32 s3, -1
	s_cbranch_scc1 .LBB0_2
; %bb.1:
	s_clause 0x1
	global_load_u16 v9, v[11:12], off
	global_load_u16 v10, v[11:12], off offset:128
	s_lshl_b64 s[4:5], s[24:25], 3
	s_delay_alu instid0(SALU_CYCLE_1) | instskip(SKIP_2) | instid1(VALU_DEP_1)
	s_add_u32 s3, s20, s4
	s_addc_u32 s4, s21, s5
	v_add_co_u32 v1, s3, s3, v17
	v_add_co_ci_u32_e64 v2, null, s4, 0, s3
	s_mov_b32 s3, s25
	s_delay_alu instid0(VALU_DEP_2) | instskip(NEXT) | instid1(VALU_DEP_2)
	v_add_co_u32 v19, vcc_lo, v1, v18
	v_add_co_ci_u32_e32 v20, vcc_lo, 0, v2, vcc_lo
	s_clause 0x1
	global_load_d16_hi_b16 v9, v[11:12], off offset:64
	global_load_d16_hi_b16 v10, v[11:12], off offset:192
	s_clause 0x3
	global_load_b64 v[1:2], v[19:20], off
	global_load_b64 v[3:4], v[19:20], off offset:256
	global_load_b64 v[5:6], v[19:20], off offset:512
	global_load_b64 v[21:22], v[19:20], off offset:768
	v_add_nc_u32_e32 v19, v7, v13
	s_delay_alu instid0(VALU_DEP_1)
	v_add_nc_u32_e32 v13, 32, v19
	v_add_nc_u32_e32 v14, 64, v19
	;; [unrolled: 1-line block ×3, first 2 shown]
	s_and_not1_b32 vcc_lo, exec_lo, s3
	s_sub_i32 s16, s2, s24
	s_cbranch_vccz .LBB0_3
	s_branch .LBB0_17
.LBB0_2:
                                        ; implicit-def: $vgpr9_vgpr10
                                        ; implicit-def: $vgpr1_vgpr2
                                        ; implicit-def: $vgpr3_vgpr4
                                        ; implicit-def: $vgpr5_vgpr6
                                        ; implicit-def: $vgpr21_vgpr22
                                        ; implicit-def: $vgpr19
                                        ; implicit-def: $vgpr13
                                        ; implicit-def: $vgpr14
                                        ; implicit-def: $vgpr16
	s_and_not1_b32 vcc_lo, exec_lo, s3
	s_sub_i32 s16, s2, s24
	s_cbranch_vccnz .LBB0_17
.LBB0_3:
	s_mov_b32 s2, 0
	v_cmp_gt_u32_e32 vcc_lo, s16, v15
	s_mov_b32 s3, s2
	s_waitcnt vmcnt(4)
	v_dual_mov_b32 v10, s3 :: v_dual_mov_b32 v9, s2
	s_and_saveexec_b32 s2, vcc_lo
	s_cbranch_execz .LBB0_5
; %bb.4:
	v_dual_mov_b32 v9, 0 :: v_dual_mov_b32 v10, 0
	global_load_d16_b16 v9, v[11:12], off
.LBB0_5:
	s_or_b32 exec_lo, exec_lo, s2
	v_add_nc_u32_e32 v13, 32, v15
	s_delay_alu instid0(VALU_DEP_1) | instskip(NEXT) | instid1(VALU_DEP_1)
	v_cmp_gt_u32_e64 s2, s16, v13
	s_and_saveexec_b32 s3, s2
	s_cbranch_execz .LBB0_7
; %bb.6:
	global_load_d16_hi_b16 v9, v[11:12], off offset:64
.LBB0_7:
	s_or_b32 exec_lo, exec_lo, s3
	v_add_nc_u32_e32 v14, 64, v15
	s_delay_alu instid0(VALU_DEP_1) | instskip(NEXT) | instid1(VALU_DEP_1)
	v_cmp_gt_u32_e64 s3, s16, v14
	s_and_saveexec_b32 s4, s3
	s_cbranch_execz .LBB0_9
; %bb.8:
	global_load_d16_b16 v10, v[11:12], off offset:128
.LBB0_9:
	s_or_b32 exec_lo, exec_lo, s4
	v_add_nc_u32_e32 v16, 0x60, v15
	s_delay_alu instid0(VALU_DEP_1) | instskip(NEXT) | instid1(VALU_DEP_1)
	v_cmp_gt_u32_e64 s4, s16, v16
	s_and_saveexec_b32 s5, s4
	s_cbranch_execz .LBB0_11
; %bb.10:
	global_load_d16_hi_b16 v10, v[11:12], off offset:192
.LBB0_11:
	s_or_b32 exec_lo, exec_lo, s5
	s_lshl_b64 s[6:7], s[24:25], 3
	s_delay_alu instid0(SALU_CYCLE_1) | instskip(SKIP_3) | instid1(VALU_DEP_1)
	s_add_u32 s5, s20, s6
	s_addc_u32 s6, s21, s7
	s_waitcnt vmcnt(3)
	v_add_co_u32 v1, s5, s5, v17
	v_add_co_ci_u32_e64 v2, null, s6, 0, s5
	s_delay_alu instid0(VALU_DEP_2) | instskip(NEXT) | instid1(VALU_DEP_1)
	v_add_co_u32 v11, s5, v1, v18
	v_add_co_ci_u32_e64 v12, s5, 0, v2, s5
                                        ; implicit-def: $vgpr1_vgpr2
	s_and_saveexec_b32 s5, vcc_lo
	s_cbranch_execnz .LBB0_54
; %bb.12:
	s_or_b32 exec_lo, exec_lo, s5
                                        ; implicit-def: $vgpr3_vgpr4
	s_and_saveexec_b32 s5, s2
	s_cbranch_execnz .LBB0_55
.LBB0_13:
	s_or_b32 exec_lo, exec_lo, s5
                                        ; implicit-def: $vgpr5_vgpr6
	s_and_saveexec_b32 s2, s3
	s_cbranch_execnz .LBB0_56
.LBB0_14:
	s_or_b32 exec_lo, exec_lo, s2
                                        ; implicit-def: $vgpr21_vgpr22
	s_and_saveexec_b32 s2, s4
	s_cbranch_execz .LBB0_16
.LBB0_15:
	global_load_b64 v[21:22], v[11:12], off offset:768
.LBB0_16:
	s_or_b32 exec_lo, exec_lo, s2
	v_mov_b32_e32 v19, v15
.LBB0_17:
	s_clause 0x1
	s_load_b32 s7, s[0:1], 0x3c
	s_load_b64 s[14:15], s[0:1], 0x28
	s_waitcnt vmcnt(0)
	v_xor_b32_e32 v43, -1, v10
	v_bfe_u32 v10, v0, 10, 10
	v_bfe_u32 v0, v0, 20, 10
	s_mov_b32 s20, 0
	v_add_nc_u32_e32 v17, -1, v7
	s_mov_b32 s30, s20
	s_mov_b32 s31, s20
	v_and_b32_e32 v11, 0x3e0, v8
	v_cmp_eq_u32_e64 s2, 0, v7
	v_cmp_gt_i32_e32 vcc_lo, 0, v17
	v_lshlrev_b32_e32 v25, 5, v8
	v_and_b32_e32 v20, 7, v7
	v_min_u32_e32 v23, 0xe0, v11
	s_mov_b32 s21, s20
	v_and_b32_e32 v12, 15, v7
	v_and_b32_e32 v15, 16, v7
	v_lshrrev_b32_e32 v18, 3, v8
	v_xor_b32_e32 v39, -1, v9
	s_waitcnt lgkmcnt(0)
	s_lshr_b32 s6, s7, 16
	s_and_b32 s7, s7, 0xffff
	v_mad_u32_u24 v0, v0, s6, v10
	v_lshlrev_b32_e32 v32, 1, v13
	v_lshlrev_b32_e32 v33, 1, v14
	v_mul_lo_u32 v13, v13, 6
	v_mul_lo_u32 v14, v14, 6
	v_mad_u64_u32 v[10:11], null, v0, s7, v[8:9]
	v_cndmask_b32_e32 v0, v17, v7, vcc_lo
	v_or_b32_e32 v7, 31, v23
	v_and_b32_e32 v27, 0x7c, v18
	v_lshlrev_b32_e32 v31, 1, v19
	v_lshlrev_b32_e32 v34, 1, v16
	v_lshlrev_b32_e32 v28, 2, v0
	v_lshrrev_b32_e32 v29, 5, v10
	v_dual_mov_b32 v9, s20 :: v_dual_mov_b32 v10, s21
	v_cmp_eq_u32_e64 s8, 0, v15
	v_cmp_eq_u32_e64 s9, v7, v8
	v_mul_lo_u32 v7, v19, 6
	v_mul_lo_u32 v15, v16, 6
	v_mul_i32_i24_e32 v0, 0xffffffe4, v8
	v_cmp_eq_u32_e64 s4, 0, v12
	v_cmp_lt_u32_e64 s5, 1, v12
	v_cmp_lt_u32_e64 s6, 3, v12
	;; [unrolled: 1-line block ×3, first 2 shown]
	v_mov_b32_e32 v11, s30
	v_cmp_gt_u32_e64 s0, 8, v8
	v_cmp_lt_u32_e64 s1, 31, v8
	v_cmp_eq_u32_e64 s3, 0, v8
	v_add_nc_u32_e32 v26, 32, v25
	v_cmp_eq_u32_e64 s10, 0, v20
	v_cmp_lt_u32_e64 s11, 1, v20
	v_cmp_lt_u32_e64 s12, 3, v20
	v_add_nc_u32_e32 v30, -4, v27
	v_dual_mov_b32 v12, s31 :: v_dual_add_nc_u32 v35, v25, v0
	v_add_nc_u32_e32 v36, v31, v7
	v_add_nc_u32_e32 v37, v32, v13
	;; [unrolled: 1-line block ×4, first 2 shown]
	s_add_i32 s17, s15, s14
	s_branch .LBB0_19
.LBB0_18:                               ;   in Loop: Header=BB0_19 Depth=1
	s_barrier
	buffer_gl0_inv
	ds_store_b16 v24, v39
	ds_store_b16 v23, v42
	;; [unrolled: 1-line block ×4, first 2 shown]
	s_waitcnt lgkmcnt(0)
	s_barrier
	buffer_gl0_inv
	ds_load_u16 v39, v31
	ds_load_u16 v43, v33
	v_mad_u64_u32 v[1:2], null, v49, 6, v[24:25]
	v_mad_u64_u32 v[2:3], null, v47, 6, v[23:24]
	;; [unrolled: 1-line block ×3, first 2 shown]
	s_add_i32 s15, s15, -8
	s_delay_alu instid0(VALU_DEP_3)
	v_mad_u64_u32 v[4:5], null, v45, 6, v[0:1]
	s_waitcnt lgkmcnt(1)
	ds_load_u16_d16_hi v39, v32
	s_waitcnt lgkmcnt(1)
	ds_load_u16_d16_hi v43, v34
	s_waitcnt lgkmcnt(0)
	s_barrier
	buffer_gl0_inv
	ds_store_b64 v1, v[19:20]
	ds_store_b64 v2, v[17:18]
	;; [unrolled: 1-line block ×4, first 2 shown]
	s_waitcnt lgkmcnt(0)
	s_barrier
	buffer_gl0_inv
	ds_load_b64 v[1:2], v36
	ds_load_b64 v[3:4], v37
	;; [unrolled: 1-line block ×4, first 2 shown]
	s_waitcnt lgkmcnt(0)
	s_barrier
	buffer_gl0_inv
	s_cbranch_execz .LBB0_35
.LBB0_19:                               ; =>This Inner Loop Header: Depth=1
	v_dual_mov_b32 v41, v43 :: v_dual_and_b32 v0, 0xffff, v39
	s_min_u32 s13, s15, 8
	ds_store_2addr_b64 v25, v[9:10], v[11:12] offset0:4 offset1:5
	ds_store_2addr_b64 v26, v[9:10], v[11:12] offset0:2 offset1:3
	s_lshl_b32 s13, -1, s13
	v_lshrrev_b32_e32 v0, s14, v0
	s_not_b32 s20, s13
	s_waitcnt lgkmcnt(0)
	s_barrier
	buffer_gl0_inv
	v_and_b32_e32 v7, s20, v0
	; wave barrier
	s_delay_alu instid0(VALU_DEP_1)
	v_and_b32_e32 v0, 1, v7
	v_lshlrev_b32_e32 v13, 30, v7
	v_lshlrev_b32_e32 v14, 29, v7
	;; [unrolled: 1-line block ×4, first 2 shown]
	v_add_co_u32 v0, s13, v0, -1
	s_delay_alu instid0(VALU_DEP_1)
	v_cndmask_b32_e64 v16, 0, 1, s13
	v_not_b32_e32 v20, v13
	v_cmp_gt_i32_e64 s13, 0, v13
	v_not_b32_e32 v13, v14
	v_lshlrev_b32_e32 v19, 25, v7
	v_cmp_ne_u32_e32 vcc_lo, 0, v16
	v_ashrrev_i32_e32 v20, 31, v20
	s_delay_alu instid0(VALU_DEP_4)
	v_ashrrev_i32_e32 v13, 31, v13
	v_xor_b32_e32 v0, vcc_lo, v0
	v_cmp_gt_i32_e32 vcc_lo, 0, v14
	v_not_b32_e32 v14, v15
	v_xor_b32_e32 v20, s13, v20
	v_cmp_gt_i32_e64 s13, 0, v15
	v_and_b32_e32 v0, exec_lo, v0
	v_not_b32_e32 v15, v17
	v_xor_b32_e32 v13, vcc_lo, v13
	v_cmp_gt_i32_e32 vcc_lo, 0, v17
	v_ashrrev_i32_e32 v14, 31, v14
	v_and_b32_e32 v0, v0, v20
	v_ashrrev_i32_e32 v15, 31, v15
	s_delay_alu instid0(VALU_DEP_3) | instskip(NEXT) | instid1(VALU_DEP_3)
	v_xor_b32_e32 v14, s13, v14
	v_and_b32_e32 v0, v0, v13
	v_not_b32_e32 v13, v19
	s_delay_alu instid0(VALU_DEP_4)
	v_xor_b32_e32 v15, vcc_lo, v15
	v_cmp_gt_i32_e32 vcc_lo, 0, v19
	v_mov_b32_e32 v20, v2
	v_lshlrev_b32_e32 v18, 26, v7
	v_lshlrev_b32_e32 v16, 24, v7
	v_and_b32_e32 v0, v0, v14
	v_ashrrev_i32_e32 v13, 31, v13
	v_mov_b32_e32 v19, v1
	v_not_b32_e32 v17, v18
	v_cmp_gt_i32_e64 s13, 0, v18
	v_not_b32_e32 v14, v16
	v_and_b32_e32 v0, v0, v15
	v_xor_b32_e32 v13, vcc_lo, v13
	v_ashrrev_i32_e32 v17, 31, v17
	v_lshl_add_u32 v1, v7, 3, v29
	v_ashrrev_i32_e32 v14, 31, v14
	s_delay_alu instid0(VALU_DEP_3) | instskip(SKIP_2) | instid1(VALU_DEP_3)
	v_xor_b32_e32 v17, s13, v17
	v_cmp_gt_i32_e64 s13, 0, v16
	v_dual_mov_b32 v16, v6 :: v_dual_mov_b32 v15, v5
	v_and_b32_e32 v0, v0, v17
	s_delay_alu instid0(VALU_DEP_3) | instskip(SKIP_1) | instid1(VALU_DEP_3)
	v_xor_b32_e32 v14, s13, v14
	v_dual_mov_b32 v18, v4 :: v_dual_mov_b32 v17, v3
	v_and_b32_e32 v0, v0, v13
	s_delay_alu instid0(VALU_DEP_1) | instskip(SKIP_2) | instid1(VALU_DEP_3)
	v_dual_mov_b32 v13, v21 :: v_dual_and_b32 v0, v0, v14
	v_mov_b32_e32 v14, v22
	v_lshl_add_u32 v22, v1, 2, 32
	v_mbcnt_lo_u32_b32 v21, v0, 0
	v_cmp_ne_u32_e64 s13, 0, v0
	s_delay_alu instid0(VALU_DEP_2) | instskip(NEXT) | instid1(VALU_DEP_2)
	v_cmp_eq_u32_e32 vcc_lo, 0, v21
	s_and_b32 s21, s13, vcc_lo
	s_delay_alu instid0(SALU_CYCLE_1)
	s_and_saveexec_b32 s13, s21
	s_cbranch_execz .LBB0_21
; %bb.20:                               ;   in Loop: Header=BB0_19 Depth=1
	v_bcnt_u32_b32 v0, v0, 0
	ds_store_b32 v22, v0
.LBB0_21:                               ;   in Loop: Header=BB0_19 Depth=1
	s_or_b32 exec_lo, exec_lo, s13
	v_lshrrev_b32_e32 v42, 16, v39
	; wave barrier
	s_delay_alu instid0(VALU_DEP_1) | instskip(NEXT) | instid1(VALU_DEP_1)
	v_lshrrev_b32_e32 v0, s14, v42
	v_and_b32_e32 v0, s20, v0
	s_delay_alu instid0(VALU_DEP_1)
	v_and_b32_e32 v1, 1, v0
	v_lshlrev_b32_e32 v2, 30, v0
	v_lshlrev_b32_e32 v3, 29, v0
	;; [unrolled: 1-line block ×4, first 2 shown]
	v_add_co_u32 v1, s13, v1, -1
	s_delay_alu instid0(VALU_DEP_1)
	v_cndmask_b32_e64 v5, 0, 1, s13
	v_not_b32_e32 v24, v2
	v_cmp_gt_i32_e64 s13, 0, v2
	v_not_b32_e32 v2, v3
	v_lshlrev_b32_e32 v7, 26, v0
	v_cmp_ne_u32_e32 vcc_lo, 0, v5
	v_ashrrev_i32_e32 v24, 31, v24
	v_lshlrev_b32_e32 v23, 25, v0
	v_ashrrev_i32_e32 v2, 31, v2
	v_lshlrev_b32_e32 v5, 24, v0
	v_xor_b32_e32 v1, vcc_lo, v1
	v_cmp_gt_i32_e32 vcc_lo, 0, v3
	v_not_b32_e32 v3, v4
	v_xor_b32_e32 v24, s13, v24
	v_cmp_gt_i32_e64 s13, 0, v4
	v_and_b32_e32 v1, exec_lo, v1
	v_not_b32_e32 v4, v6
	v_ashrrev_i32_e32 v3, 31, v3
	v_xor_b32_e32 v2, vcc_lo, v2
	v_cmp_gt_i32_e32 vcc_lo, 0, v6
	v_and_b32_e32 v1, v1, v24
	v_not_b32_e32 v6, v7
	v_ashrrev_i32_e32 v4, 31, v4
	v_xor_b32_e32 v3, s13, v3
	v_cmp_gt_i32_e64 s13, 0, v7
	v_and_b32_e32 v1, v1, v2
	v_not_b32_e32 v2, v23
	v_ashrrev_i32_e32 v6, 31, v6
	v_xor_b32_e32 v4, vcc_lo, v4
	v_cmp_gt_i32_e32 vcc_lo, 0, v23
	v_and_b32_e32 v1, v1, v3
	v_not_b32_e32 v3, v5
	v_ashrrev_i32_e32 v2, 31, v2
	v_xor_b32_e32 v6, s13, v6
	v_lshlrev_b32_e32 v0, 3, v0
	v_and_b32_e32 v1, v1, v4
	v_cmp_gt_i32_e64 s13, 0, v5
	v_ashrrev_i32_e32 v3, 31, v3
	v_xor_b32_e32 v2, vcc_lo, v2
	v_add_lshl_u32 v4, v0, v29, 2
	v_and_b32_e32 v1, v1, v6
	s_delay_alu instid0(VALU_DEP_4) | instskip(SKIP_3) | instid1(VALU_DEP_2)
	v_xor_b32_e32 v0, s13, v3
	ds_load_b32 v23, v4 offset:32
	v_and_b32_e32 v1, v1, v2
	v_add_nc_u32_e32 v43, 32, v4
	; wave barrier
	v_and_b32_e32 v0, v1, v0
	s_delay_alu instid0(VALU_DEP_1) | instskip(SKIP_1) | instid1(VALU_DEP_2)
	v_mbcnt_lo_u32_b32 v24, v0, 0
	v_cmp_ne_u32_e64 s13, 0, v0
	v_cmp_eq_u32_e32 vcc_lo, 0, v24
	s_delay_alu instid0(VALU_DEP_2) | instskip(NEXT) | instid1(SALU_CYCLE_1)
	s_and_b32 s21, s13, vcc_lo
	s_and_saveexec_b32 s13, s21
	s_cbranch_execz .LBB0_23
; %bb.22:                               ;   in Loop: Header=BB0_19 Depth=1
	s_waitcnt lgkmcnt(0)
	v_bcnt_u32_b32 v0, v0, v23
	ds_store_b32 v43, v0
.LBB0_23:                               ;   in Loop: Header=BB0_19 Depth=1
	s_or_b32 exec_lo, exec_lo, s13
	v_and_b32_e32 v0, 0xffff, v41
	; wave barrier
	s_delay_alu instid0(VALU_DEP_1) | instskip(NEXT) | instid1(VALU_DEP_1)
	v_lshrrev_b32_e32 v0, s14, v0
	v_and_b32_e32 v0, s20, v0
	s_delay_alu instid0(VALU_DEP_1)
	v_and_b32_e32 v1, 1, v0
	v_lshlrev_b32_e32 v2, 30, v0
	v_lshlrev_b32_e32 v3, 29, v0
	;; [unrolled: 1-line block ×4, first 2 shown]
	v_add_co_u32 v1, s13, v1, -1
	s_delay_alu instid0(VALU_DEP_1)
	v_cndmask_b32_e64 v5, 0, 1, s13
	v_not_b32_e32 v45, v2
	v_cmp_gt_i32_e64 s13, 0, v2
	v_not_b32_e32 v2, v3
	v_lshlrev_b32_e32 v7, 26, v0
	v_cmp_ne_u32_e32 vcc_lo, 0, v5
	v_ashrrev_i32_e32 v45, 31, v45
	v_lshlrev_b32_e32 v44, 25, v0
	v_ashrrev_i32_e32 v2, 31, v2
	v_lshlrev_b32_e32 v5, 24, v0
	v_xor_b32_e32 v1, vcc_lo, v1
	v_cmp_gt_i32_e32 vcc_lo, 0, v3
	v_not_b32_e32 v3, v4
	v_xor_b32_e32 v45, s13, v45
	v_cmp_gt_i32_e64 s13, 0, v4
	v_and_b32_e32 v1, exec_lo, v1
	v_not_b32_e32 v4, v6
	v_ashrrev_i32_e32 v3, 31, v3
	v_xor_b32_e32 v2, vcc_lo, v2
	v_cmp_gt_i32_e32 vcc_lo, 0, v6
	v_and_b32_e32 v1, v1, v45
	v_not_b32_e32 v6, v7
	v_ashrrev_i32_e32 v4, 31, v4
	v_xor_b32_e32 v3, s13, v3
	v_cmp_gt_i32_e64 s13, 0, v7
	v_and_b32_e32 v1, v1, v2
	v_not_b32_e32 v2, v44
	v_ashrrev_i32_e32 v6, 31, v6
	v_xor_b32_e32 v4, vcc_lo, v4
	v_cmp_gt_i32_e32 vcc_lo, 0, v44
	v_and_b32_e32 v1, v1, v3
	v_not_b32_e32 v3, v5
	v_ashrrev_i32_e32 v2, 31, v2
	v_xor_b32_e32 v6, s13, v6
	v_lshlrev_b32_e32 v0, 3, v0
	v_and_b32_e32 v1, v1, v4
	v_cmp_gt_i32_e64 s13, 0, v5
	v_ashrrev_i32_e32 v3, 31, v3
	v_xor_b32_e32 v2, vcc_lo, v2
	v_add_lshl_u32 v4, v0, v29, 2
	v_and_b32_e32 v1, v1, v6
	s_delay_alu instid0(VALU_DEP_4) | instskip(SKIP_3) | instid1(VALU_DEP_2)
	v_xor_b32_e32 v0, s13, v3
	ds_load_b32 v45, v4 offset:32
	v_and_b32_e32 v1, v1, v2
	v_add_nc_u32_e32 v47, 32, v4
	; wave barrier
	v_and_b32_e32 v0, v1, v0
	s_delay_alu instid0(VALU_DEP_1) | instskip(SKIP_1) | instid1(VALU_DEP_2)
	v_mbcnt_lo_u32_b32 v46, v0, 0
	v_cmp_ne_u32_e64 s13, 0, v0
	v_cmp_eq_u32_e32 vcc_lo, 0, v46
	s_delay_alu instid0(VALU_DEP_2) | instskip(NEXT) | instid1(SALU_CYCLE_1)
	s_and_b32 s21, s13, vcc_lo
	s_and_saveexec_b32 s13, s21
	s_cbranch_execz .LBB0_25
; %bb.24:                               ;   in Loop: Header=BB0_19 Depth=1
	s_waitcnt lgkmcnt(0)
	v_bcnt_u32_b32 v0, v0, v45
	ds_store_b32 v47, v0
.LBB0_25:                               ;   in Loop: Header=BB0_19 Depth=1
	s_or_b32 exec_lo, exec_lo, s13
	v_lshrrev_b32_e32 v44, 16, v41
	; wave barrier
	s_delay_alu instid0(VALU_DEP_1) | instskip(NEXT) | instid1(VALU_DEP_1)
	v_lshrrev_b32_e32 v0, s14, v44
	v_and_b32_e32 v0, s20, v0
	s_delay_alu instid0(VALU_DEP_1)
	v_and_b32_e32 v1, 1, v0
	v_lshlrev_b32_e32 v2, 30, v0
	v_lshlrev_b32_e32 v3, 29, v0
	;; [unrolled: 1-line block ×4, first 2 shown]
	v_add_co_u32 v1, s13, v1, -1
	s_delay_alu instid0(VALU_DEP_1)
	v_cndmask_b32_e64 v5, 0, 1, s13
	v_not_b32_e32 v49, v2
	v_cmp_gt_i32_e64 s13, 0, v2
	v_not_b32_e32 v2, v3
	v_lshlrev_b32_e32 v7, 26, v0
	v_cmp_ne_u32_e32 vcc_lo, 0, v5
	v_ashrrev_i32_e32 v49, 31, v49
	v_lshlrev_b32_e32 v48, 25, v0
	v_ashrrev_i32_e32 v2, 31, v2
	v_lshlrev_b32_e32 v5, 24, v0
	v_xor_b32_e32 v1, vcc_lo, v1
	v_cmp_gt_i32_e32 vcc_lo, 0, v3
	v_not_b32_e32 v3, v4
	v_xor_b32_e32 v49, s13, v49
	v_cmp_gt_i32_e64 s13, 0, v4
	v_and_b32_e32 v1, exec_lo, v1
	v_not_b32_e32 v4, v6
	v_ashrrev_i32_e32 v3, 31, v3
	v_xor_b32_e32 v2, vcc_lo, v2
	v_cmp_gt_i32_e32 vcc_lo, 0, v6
	v_and_b32_e32 v1, v1, v49
	v_not_b32_e32 v6, v7
	v_ashrrev_i32_e32 v4, 31, v4
	v_xor_b32_e32 v3, s13, v3
	v_cmp_gt_i32_e64 s13, 0, v7
	v_and_b32_e32 v1, v1, v2
	v_not_b32_e32 v2, v48
	v_ashrrev_i32_e32 v6, 31, v6
	v_xor_b32_e32 v4, vcc_lo, v4
	v_cmp_gt_i32_e32 vcc_lo, 0, v48
	v_and_b32_e32 v1, v1, v3
	v_not_b32_e32 v3, v5
	v_ashrrev_i32_e32 v2, 31, v2
	v_xor_b32_e32 v6, s13, v6
	v_lshlrev_b32_e32 v0, 3, v0
	v_and_b32_e32 v1, v1, v4
	v_cmp_gt_i32_e64 s13, 0, v5
	v_ashrrev_i32_e32 v3, 31, v3
	v_xor_b32_e32 v2, vcc_lo, v2
	v_add_lshl_u32 v4, v0, v29, 2
	v_and_b32_e32 v1, v1, v6
	s_delay_alu instid0(VALU_DEP_4) | instskip(SKIP_3) | instid1(VALU_DEP_2)
	v_xor_b32_e32 v0, s13, v3
	ds_load_b32 v48, v4 offset:32
	v_and_b32_e32 v1, v1, v2
	v_add_nc_u32_e32 v49, 32, v4
	; wave barrier
	v_and_b32_e32 v0, v1, v0
	s_delay_alu instid0(VALU_DEP_1) | instskip(SKIP_1) | instid1(VALU_DEP_2)
	v_mbcnt_lo_u32_b32 v50, v0, 0
	v_cmp_ne_u32_e64 s13, 0, v0
	v_cmp_eq_u32_e32 vcc_lo, 0, v50
	s_delay_alu instid0(VALU_DEP_2) | instskip(NEXT) | instid1(SALU_CYCLE_1)
	s_and_b32 s20, s13, vcc_lo
	s_and_saveexec_b32 s13, s20
	s_cbranch_execz .LBB0_27
; %bb.26:                               ;   in Loop: Header=BB0_19 Depth=1
	s_waitcnt lgkmcnt(0)
	v_bcnt_u32_b32 v0, v0, v48
	ds_store_b32 v49, v0
.LBB0_27:                               ;   in Loop: Header=BB0_19 Depth=1
	s_or_b32 exec_lo, exec_lo, s13
	; wave barrier
	s_waitcnt lgkmcnt(0)
	s_barrier
	buffer_gl0_inv
	ds_load_2addr_b64 v[4:7], v25 offset0:4 offset1:5
	ds_load_2addr_b64 v[0:3], v26 offset0:2 offset1:3
	s_waitcnt lgkmcnt(1)
	v_add_nc_u32_e32 v51, v5, v4
	s_delay_alu instid0(VALU_DEP_1) | instskip(SKIP_1) | instid1(VALU_DEP_1)
	v_add3_u32 v51, v51, v6, v7
	s_waitcnt lgkmcnt(0)
	v_add3_u32 v51, v51, v0, v1
	s_delay_alu instid0(VALU_DEP_1) | instskip(NEXT) | instid1(VALU_DEP_1)
	v_add3_u32 v3, v51, v2, v3
	v_mov_b32_dpp v51, v3 row_shr:1 row_mask:0xf bank_mask:0xf
	s_delay_alu instid0(VALU_DEP_1) | instskip(NEXT) | instid1(VALU_DEP_1)
	v_cndmask_b32_e64 v51, v51, 0, s4
	v_add_nc_u32_e32 v3, v51, v3
	s_delay_alu instid0(VALU_DEP_1) | instskip(NEXT) | instid1(VALU_DEP_1)
	v_mov_b32_dpp v51, v3 row_shr:2 row_mask:0xf bank_mask:0xf
	v_cndmask_b32_e64 v51, 0, v51, s5
	s_delay_alu instid0(VALU_DEP_1) | instskip(NEXT) | instid1(VALU_DEP_1)
	v_add_nc_u32_e32 v3, v3, v51
	v_mov_b32_dpp v51, v3 row_shr:4 row_mask:0xf bank_mask:0xf
	s_delay_alu instid0(VALU_DEP_1) | instskip(NEXT) | instid1(VALU_DEP_1)
	v_cndmask_b32_e64 v51, 0, v51, s6
	v_add_nc_u32_e32 v3, v3, v51
	s_delay_alu instid0(VALU_DEP_1) | instskip(NEXT) | instid1(VALU_DEP_1)
	v_mov_b32_dpp v51, v3 row_shr:8 row_mask:0xf bank_mask:0xf
	v_cndmask_b32_e64 v51, 0, v51, s7
	s_delay_alu instid0(VALU_DEP_1) | instskip(SKIP_3) | instid1(VALU_DEP_1)
	v_add_nc_u32_e32 v3, v3, v51
	ds_swizzle_b32 v51, v3 offset:swizzle(BROADCAST,32,15)
	s_waitcnt lgkmcnt(0)
	v_cndmask_b32_e64 v51, v51, 0, s8
	v_add_nc_u32_e32 v3, v3, v51
	s_and_saveexec_b32 s13, s9
	s_cbranch_execz .LBB0_29
; %bb.28:                               ;   in Loop: Header=BB0_19 Depth=1
	ds_store_b32 v27, v3
.LBB0_29:                               ;   in Loop: Header=BB0_19 Depth=1
	s_or_b32 exec_lo, exec_lo, s13
	s_waitcnt lgkmcnt(0)
	s_barrier
	buffer_gl0_inv
	s_and_saveexec_b32 s13, s0
	s_cbranch_execz .LBB0_31
; %bb.30:                               ;   in Loop: Header=BB0_19 Depth=1
	ds_load_b32 v51, v35
	s_waitcnt lgkmcnt(0)
	v_mov_b32_dpp v52, v51 row_shr:1 row_mask:0xf bank_mask:0xf
	s_delay_alu instid0(VALU_DEP_1) | instskip(NEXT) | instid1(VALU_DEP_1)
	v_cndmask_b32_e64 v52, v52, 0, s10
	v_add_nc_u32_e32 v51, v52, v51
	s_delay_alu instid0(VALU_DEP_1) | instskip(NEXT) | instid1(VALU_DEP_1)
	v_mov_b32_dpp v52, v51 row_shr:2 row_mask:0xf bank_mask:0xf
	v_cndmask_b32_e64 v52, 0, v52, s11
	s_delay_alu instid0(VALU_DEP_1) | instskip(NEXT) | instid1(VALU_DEP_1)
	v_add_nc_u32_e32 v51, v51, v52
	v_mov_b32_dpp v52, v51 row_shr:4 row_mask:0xf bank_mask:0xf
	s_delay_alu instid0(VALU_DEP_1) | instskip(NEXT) | instid1(VALU_DEP_1)
	v_cndmask_b32_e64 v52, 0, v52, s12
	v_add_nc_u32_e32 v51, v51, v52
	ds_store_b32 v35, v51
.LBB0_31:                               ;   in Loop: Header=BB0_19 Depth=1
	s_or_b32 exec_lo, exec_lo, s13
	v_mov_b32_e32 v51, 0
	s_waitcnt lgkmcnt(0)
	s_barrier
	buffer_gl0_inv
	s_and_saveexec_b32 s13, s1
	s_cbranch_execz .LBB0_33
; %bb.32:                               ;   in Loop: Header=BB0_19 Depth=1
	ds_load_b32 v51, v30
.LBB0_33:                               ;   in Loop: Header=BB0_19 Depth=1
	s_or_b32 exec_lo, exec_lo, s13
	s_waitcnt lgkmcnt(0)
	v_add_nc_u32_e32 v3, v51, v3
	s_add_i32 s14, s14, 8
	s_delay_alu instid0(SALU_CYCLE_1) | instskip(SKIP_3) | instid1(VALU_DEP_1)
	s_cmp_ge_u32 s14, s17
	ds_bpermute_b32 v3, v28, v3
	s_waitcnt lgkmcnt(0)
	v_cndmask_b32_e64 v3, v3, v51, s2
	v_cndmask_b32_e64 v3, v3, 0, s3
	s_delay_alu instid0(VALU_DEP_1) | instskip(NEXT) | instid1(VALU_DEP_1)
	v_add_nc_u32_e32 v4, v3, v4
	v_add_nc_u32_e32 v5, v4, v5
	s_delay_alu instid0(VALU_DEP_1) | instskip(NEXT) | instid1(VALU_DEP_1)
	v_add_nc_u32_e32 v6, v5, v6
	v_add_nc_u32_e32 v51, v6, v7
	;; [unrolled: 3-line block ×3, first 2 shown]
	s_delay_alu instid0(VALU_DEP_1)
	v_add_nc_u32_e32 v1, v0, v2
	ds_store_2addr_b64 v25, v[3:4], v[5:6] offset0:4 offset1:5
	ds_store_2addr_b64 v26, v[51:52], v[0:1] offset0:2 offset1:3
	v_mov_b32_e32 v51, v39
	s_waitcnt lgkmcnt(0)
	s_barrier
	buffer_gl0_inv
	ds_load_b32 v0, v22
	ds_load_b32 v1, v43
	;; [unrolled: 1-line block ×4, first 2 shown]
	s_waitcnt lgkmcnt(0)
	v_add_nc_u32_e32 v49, v0, v21
	v_add3_u32 v47, v24, v23, v1
	v_add3_u32 v46, v46, v45, v2
	;; [unrolled: 1-line block ×3, first 2 shown]
	s_delay_alu instid0(VALU_DEP_4) | instskip(NEXT) | instid1(VALU_DEP_4)
	v_lshlrev_b32_e32 v24, 1, v49
	v_lshlrev_b32_e32 v23, 1, v47
	s_delay_alu instid0(VALU_DEP_4) | instskip(NEXT) | instid1(VALU_DEP_4)
	v_lshlrev_b32_e32 v7, 1, v46
	v_lshlrev_b32_e32 v0, 1, v45
	s_cbranch_scc0 .LBB0_18
; %bb.34:
                                        ; implicit-def: $vgpr43
                                        ; implicit-def: $vgpr39
                                        ; implicit-def: $sgpr14
                                        ; implicit-def: $vgpr1_vgpr2
                                        ; implicit-def: $vgpr3_vgpr4
                                        ; implicit-def: $vgpr5_vgpr6
                                        ; implicit-def: $vgpr21_vgpr22
.LBB0_35:
	v_mad_u64_u32 v[1:2], null, v49, 6, v[24:25]
	v_lshlrev_b32_e32 v9, 1, v8
	v_mad_u64_u32 v[2:3], null, v47, 6, v[23:24]
	v_mad_u64_u32 v[3:4], null, v46, 6, v[7:8]
	s_barrier
	s_delay_alu instid0(VALU_DEP_4)
	v_mad_u64_u32 v[4:5], null, v45, 6, v[0:1]
	buffer_gl0_inv
	ds_store_b16 v24, v51
	ds_store_b16 v23, v42
	;; [unrolled: 1-line block ×4, first 2 shown]
	s_waitcnt lgkmcnt(0)
	s_barrier
	buffer_gl0_inv
	ds_load_u16 v10, v9
	ds_load_u16 v11, v9 offset:512
	ds_load_u16 v12, v9 offset:1024
	;; [unrolled: 1-line block ×3, first 2 shown]
	v_mad_u32_u24 v0, v8, 6, v9
	s_waitcnt lgkmcnt(0)
	s_barrier
	buffer_gl0_inv
	ds_store_b64 v1, v[19:20]
	ds_store_b64 v2, v[17:18]
	;; [unrolled: 1-line block ×4, first 2 shown]
	s_waitcnt lgkmcnt(0)
	s_barrier
	buffer_gl0_inv
	ds_load_2addr_stride64_b64 v[4:7], v0 offset1:4
	ds_load_2addr_stride64_b64 v[0:3], v0 offset0:8 offset1:12
	s_add_u32 s0, s18, s26
	s_addc_u32 s1, s19, s27
	v_add_co_u32 v9, s0, s0, v9
	s_and_not1_b32 vcc_lo, exec_lo, s28
	s_mov_b32 s2, 0
	v_xor_b32_e32 v15, -1, v10
	v_xor_b32_e32 v13, -1, v11
	;; [unrolled: 1-line block ×4, first 2 shown]
	v_add_co_ci_u32_e64 v10, null, s1, 0, s0
	v_lshlrev_b32_e32 v11, 3, v8
	s_mov_b32 s0, -1
	s_cbranch_vccz .LBB0_39
; %bb.36:
	s_and_not1_b32 vcc_lo, exec_lo, s0
	s_cbranch_vccz .LBB0_40
.LBB0_37:
	s_and_saveexec_b32 s0, s2
	s_cbranch_execnz .LBB0_53
.LBB0_38:
	s_nop 0
	s_sendmsg sendmsg(MSG_DEALLOC_VGPRS)
	s_endpgm
.LBB0_39:
	s_lshl_b64 s[0:1], s[24:25], 3
	s_mov_b32 s2, -1
	s_add_u32 s4, s22, s0
	s_addc_u32 s5, s23, s1
	v_add_co_u32 v16, s0, s4, v11
	s_delay_alu instid0(VALU_DEP_1) | instskip(NEXT) | instid1(VALU_DEP_2)
	v_add_co_ci_u32_e64 v17, null, s5, 0, s0
	v_add_co_u32 v16, vcc_lo, 0x1000, v16
	s_delay_alu instid0(VALU_DEP_2)
	v_add_co_ci_u32_e32 v17, vcc_lo, 0, v17, vcc_lo
	s_clause 0x3
	global_store_b16 v[9:10], v15, off
	global_store_b16 v[9:10], v13, off offset:512
	global_store_b16 v[9:10], v14, off offset:1024
	;; [unrolled: 1-line block ×3, first 2 shown]
	s_waitcnt lgkmcnt(1)
	s_clause 0x1
	global_store_b64 v11, v[6:7], s[4:5] offset:2048
	global_store_b64 v11, v[4:5], s[4:5]
	s_waitcnt lgkmcnt(0)
	global_store_b64 v[16:17], v[0:1], off
	s_cbranch_execnz .LBB0_37
.LBB0_40:
	v_cmp_gt_u32_e32 vcc_lo, s16, v8
	s_and_saveexec_b32 s0, vcc_lo
	s_cbranch_execz .LBB0_42
; %bb.41:
	global_store_b16 v[9:10], v15, off
.LBB0_42:
	s_or_b32 exec_lo, exec_lo, s0
	v_add_nc_u32_e32 v15, 0x100, v8
	s_delay_alu instid0(VALU_DEP_1) | instskip(NEXT) | instid1(VALU_DEP_1)
	v_cmp_gt_u32_e64 s0, s16, v15
	s_and_saveexec_b32 s1, s0
	s_cbranch_execz .LBB0_44
; %bb.43:
	global_store_b16 v[9:10], v13, off offset:512
.LBB0_44:
	s_or_b32 exec_lo, exec_lo, s1
	v_add_nc_u32_e32 v13, 0x200, v8
	s_delay_alu instid0(VALU_DEP_1) | instskip(NEXT) | instid1(VALU_DEP_1)
	v_cmp_gt_u32_e64 s1, s16, v13
	s_and_saveexec_b32 s2, s1
	s_cbranch_execz .LBB0_46
; %bb.45:
	global_store_b16 v[9:10], v14, off offset:1024
.LBB0_46:
	;; [unrolled: 9-line block ×3, first 2 shown]
	s_or_b32 exec_lo, exec_lo, s3
	s_lshl_b64 s[4:5], s[24:25], 3
	s_delay_alu instid0(SALU_CYCLE_1) | instskip(SKIP_2) | instid1(VALU_DEP_1)
	s_add_u32 s3, s22, s4
	s_addc_u32 s4, s23, s5
	v_add_co_u32 v8, s3, s3, v11
	v_add_co_ci_u32_e64 v9, null, s4, 0, s3
	s_and_saveexec_b32 s3, vcc_lo
	s_cbranch_execnz .LBB0_57
; %bb.49:
	s_or_b32 exec_lo, exec_lo, s3
	s_and_saveexec_b32 s3, s0
	s_cbranch_execnz .LBB0_58
.LBB0_50:
	s_or_b32 exec_lo, exec_lo, s3
	s_and_saveexec_b32 s0, s1
	s_cbranch_execz .LBB0_52
.LBB0_51:
	s_waitcnt lgkmcnt(1)
	v_add_co_u32 v4, vcc_lo, 0x1000, v8
	v_add_co_ci_u32_e32 v5, vcc_lo, 0, v9, vcc_lo
	s_waitcnt lgkmcnt(0)
	global_store_b64 v[4:5], v[0:1], off
.LBB0_52:
	s_or_b32 exec_lo, exec_lo, s0
	s_and_saveexec_b32 s0, s2
	s_cbranch_execz .LBB0_38
.LBB0_53:
	s_lshl_b64 s[0:1], s[24:25], 3
	s_delay_alu instid0(SALU_CYCLE_1) | instskip(SKIP_3) | instid1(VALU_DEP_1)
	s_add_u32 s0, s22, s0
	s_addc_u32 s1, s23, s1
	s_waitcnt lgkmcnt(0)
	v_add_co_u32 v0, s0, s0, v11
	v_add_co_ci_u32_e64 v1, null, s1, 0, s0
	s_delay_alu instid0(VALU_DEP_2) | instskip(NEXT) | instid1(VALU_DEP_2)
	v_add_co_u32 v0, vcc_lo, 0x1000, v0
	v_add_co_ci_u32_e32 v1, vcc_lo, 0, v1, vcc_lo
	global_store_b64 v[0:1], v[2:3], off offset:2048
	s_nop 0
	s_sendmsg sendmsg(MSG_DEALLOC_VGPRS)
	s_endpgm
.LBB0_54:
	global_load_b64 v[1:2], v[11:12], off
	s_or_b32 exec_lo, exec_lo, s5
                                        ; implicit-def: $vgpr3_vgpr4
	s_and_saveexec_b32 s5, s2
	s_cbranch_execz .LBB0_13
.LBB0_55:
	global_load_b64 v[3:4], v[11:12], off offset:256
	s_or_b32 exec_lo, exec_lo, s5
                                        ; implicit-def: $vgpr5_vgpr6
	s_and_saveexec_b32 s2, s3
	s_cbranch_execz .LBB0_14
.LBB0_56:
	global_load_b64 v[5:6], v[11:12], off offset:512
	s_or_b32 exec_lo, exec_lo, s2
                                        ; implicit-def: $vgpr21_vgpr22
	s_and_saveexec_b32 s2, s4
	s_cbranch_execnz .LBB0_15
	s_branch .LBB0_16
.LBB0_57:
	s_waitcnt lgkmcnt(1)
	global_store_b64 v[8:9], v[4:5], off
	s_or_b32 exec_lo, exec_lo, s3
	s_and_saveexec_b32 s3, s0
	s_cbranch_execz .LBB0_50
.LBB0_58:
	s_waitcnt lgkmcnt(1)
	global_store_b64 v[8:9], v[6:7], off offset:2048
	s_or_b32 exec_lo, exec_lo, s3
	s_and_saveexec_b32 s0, s1
	s_cbranch_execnz .LBB0_51
	s_branch .LBB0_52
	.section	.rodata,"a",@progbits
	.p2align	6, 0x0
	.amdhsa_kernel _ZN7rocprim17ROCPRIM_304000_NS6detail28radix_sort_block_sort_kernelINS1_36wrapped_radix_sort_block_sort_configINS0_13kernel_configILj256ELj4ELj4294967295EEEtN2at4cuda3cub6detail10OpaqueTypeILi8EEEEELb1EPKtPtPKSB_PSB_NS0_19identity_decomposerEEEvT1_T2_T3_T4_jT5_jj
		.amdhsa_group_segment_fixed_size 8224
		.amdhsa_private_segment_fixed_size 0
		.amdhsa_kernarg_size 304
		.amdhsa_user_sgpr_count 15
		.amdhsa_user_sgpr_dispatch_ptr 0
		.amdhsa_user_sgpr_queue_ptr 0
		.amdhsa_user_sgpr_kernarg_segment_ptr 1
		.amdhsa_user_sgpr_dispatch_id 0
		.amdhsa_user_sgpr_private_segment_size 0
		.amdhsa_wavefront_size32 1
		.amdhsa_uses_dynamic_stack 0
		.amdhsa_enable_private_segment 0
		.amdhsa_system_sgpr_workgroup_id_x 1
		.amdhsa_system_sgpr_workgroup_id_y 0
		.amdhsa_system_sgpr_workgroup_id_z 0
		.amdhsa_system_sgpr_workgroup_info 0
		.amdhsa_system_vgpr_workitem_id 2
		.amdhsa_next_free_vgpr 53
		.amdhsa_next_free_sgpr 32
		.amdhsa_reserve_vcc 1
		.amdhsa_float_round_mode_32 0
		.amdhsa_float_round_mode_16_64 0
		.amdhsa_float_denorm_mode_32 3
		.amdhsa_float_denorm_mode_16_64 3
		.amdhsa_dx10_clamp 1
		.amdhsa_ieee_mode 1
		.amdhsa_fp16_overflow 0
		.amdhsa_workgroup_processor_mode 1
		.amdhsa_memory_ordered 1
		.amdhsa_forward_progress 0
		.amdhsa_shared_vgpr_count 0
		.amdhsa_exception_fp_ieee_invalid_op 0
		.amdhsa_exception_fp_denorm_src 0
		.amdhsa_exception_fp_ieee_div_zero 0
		.amdhsa_exception_fp_ieee_overflow 0
		.amdhsa_exception_fp_ieee_underflow 0
		.amdhsa_exception_fp_ieee_inexact 0
		.amdhsa_exception_int_div_zero 0
	.end_amdhsa_kernel
	.section	.text._ZN7rocprim17ROCPRIM_304000_NS6detail28radix_sort_block_sort_kernelINS1_36wrapped_radix_sort_block_sort_configINS0_13kernel_configILj256ELj4ELj4294967295EEEtN2at4cuda3cub6detail10OpaqueTypeILi8EEEEELb1EPKtPtPKSB_PSB_NS0_19identity_decomposerEEEvT1_T2_T3_T4_jT5_jj,"axG",@progbits,_ZN7rocprim17ROCPRIM_304000_NS6detail28radix_sort_block_sort_kernelINS1_36wrapped_radix_sort_block_sort_configINS0_13kernel_configILj256ELj4ELj4294967295EEEtN2at4cuda3cub6detail10OpaqueTypeILi8EEEEELb1EPKtPtPKSB_PSB_NS0_19identity_decomposerEEEvT1_T2_T3_T4_jT5_jj,comdat
.Lfunc_end0:
	.size	_ZN7rocprim17ROCPRIM_304000_NS6detail28radix_sort_block_sort_kernelINS1_36wrapped_radix_sort_block_sort_configINS0_13kernel_configILj256ELj4ELj4294967295EEEtN2at4cuda3cub6detail10OpaqueTypeILi8EEEEELb1EPKtPtPKSB_PSB_NS0_19identity_decomposerEEEvT1_T2_T3_T4_jT5_jj, .Lfunc_end0-_ZN7rocprim17ROCPRIM_304000_NS6detail28radix_sort_block_sort_kernelINS1_36wrapped_radix_sort_block_sort_configINS0_13kernel_configILj256ELj4ELj4294967295EEEtN2at4cuda3cub6detail10OpaqueTypeILi8EEEEELb1EPKtPtPKSB_PSB_NS0_19identity_decomposerEEEvT1_T2_T3_T4_jT5_jj
                                        ; -- End function
	.section	.AMDGPU.csdata,"",@progbits
; Kernel info:
; codeLenInByte = 4168
; NumSgprs: 34
; NumVgprs: 53
; ScratchSize: 0
; MemoryBound: 0
; FloatMode: 240
; IeeeMode: 1
; LDSByteSize: 8224 bytes/workgroup (compile time only)
; SGPRBlocks: 4
; VGPRBlocks: 6
; NumSGPRsForWavesPerEU: 34
; NumVGPRsForWavesPerEU: 53
; Occupancy: 16
; WaveLimiterHint : 1
; COMPUTE_PGM_RSRC2:SCRATCH_EN: 0
; COMPUTE_PGM_RSRC2:USER_SGPR: 15
; COMPUTE_PGM_RSRC2:TRAP_HANDLER: 0
; COMPUTE_PGM_RSRC2:TGID_X_EN: 1
; COMPUTE_PGM_RSRC2:TGID_Y_EN: 0
; COMPUTE_PGM_RSRC2:TGID_Z_EN: 0
; COMPUTE_PGM_RSRC2:TIDIG_COMP_CNT: 2
	.section	.text._ZN7rocprim17ROCPRIM_304000_NS6detail39device_merge_sort_compile_time_verifierINS1_36wrapped_merge_sort_block_sort_configINS1_28merge_sort_block_sort_configILj256ELj4ELNS0_20block_sort_algorithmE0EEEtN2at4cuda3cub6detail10OpaqueTypeILi8EEEEENS1_37wrapped_merge_sort_block_merge_configINS0_14default_configEtSC_EEEEvv,"axG",@progbits,_ZN7rocprim17ROCPRIM_304000_NS6detail39device_merge_sort_compile_time_verifierINS1_36wrapped_merge_sort_block_sort_configINS1_28merge_sort_block_sort_configILj256ELj4ELNS0_20block_sort_algorithmE0EEEtN2at4cuda3cub6detail10OpaqueTypeILi8EEEEENS1_37wrapped_merge_sort_block_merge_configINS0_14default_configEtSC_EEEEvv,comdat
	.protected	_ZN7rocprim17ROCPRIM_304000_NS6detail39device_merge_sort_compile_time_verifierINS1_36wrapped_merge_sort_block_sort_configINS1_28merge_sort_block_sort_configILj256ELj4ELNS0_20block_sort_algorithmE0EEEtN2at4cuda3cub6detail10OpaqueTypeILi8EEEEENS1_37wrapped_merge_sort_block_merge_configINS0_14default_configEtSC_EEEEvv ; -- Begin function _ZN7rocprim17ROCPRIM_304000_NS6detail39device_merge_sort_compile_time_verifierINS1_36wrapped_merge_sort_block_sort_configINS1_28merge_sort_block_sort_configILj256ELj4ELNS0_20block_sort_algorithmE0EEEtN2at4cuda3cub6detail10OpaqueTypeILi8EEEEENS1_37wrapped_merge_sort_block_merge_configINS0_14default_configEtSC_EEEEvv
	.globl	_ZN7rocprim17ROCPRIM_304000_NS6detail39device_merge_sort_compile_time_verifierINS1_36wrapped_merge_sort_block_sort_configINS1_28merge_sort_block_sort_configILj256ELj4ELNS0_20block_sort_algorithmE0EEEtN2at4cuda3cub6detail10OpaqueTypeILi8EEEEENS1_37wrapped_merge_sort_block_merge_configINS0_14default_configEtSC_EEEEvv
	.p2align	8
	.type	_ZN7rocprim17ROCPRIM_304000_NS6detail39device_merge_sort_compile_time_verifierINS1_36wrapped_merge_sort_block_sort_configINS1_28merge_sort_block_sort_configILj256ELj4ELNS0_20block_sort_algorithmE0EEEtN2at4cuda3cub6detail10OpaqueTypeILi8EEEEENS1_37wrapped_merge_sort_block_merge_configINS0_14default_configEtSC_EEEEvv,@function
_ZN7rocprim17ROCPRIM_304000_NS6detail39device_merge_sort_compile_time_verifierINS1_36wrapped_merge_sort_block_sort_configINS1_28merge_sort_block_sort_configILj256ELj4ELNS0_20block_sort_algorithmE0EEEtN2at4cuda3cub6detail10OpaqueTypeILi8EEEEENS1_37wrapped_merge_sort_block_merge_configINS0_14default_configEtSC_EEEEvv: ; @_ZN7rocprim17ROCPRIM_304000_NS6detail39device_merge_sort_compile_time_verifierINS1_36wrapped_merge_sort_block_sort_configINS1_28merge_sort_block_sort_configILj256ELj4ELNS0_20block_sort_algorithmE0EEEtN2at4cuda3cub6detail10OpaqueTypeILi8EEEEENS1_37wrapped_merge_sort_block_merge_configINS0_14default_configEtSC_EEEEvv
; %bb.0:
	s_endpgm
	.section	.rodata,"a",@progbits
	.p2align	6, 0x0
	.amdhsa_kernel _ZN7rocprim17ROCPRIM_304000_NS6detail39device_merge_sort_compile_time_verifierINS1_36wrapped_merge_sort_block_sort_configINS1_28merge_sort_block_sort_configILj256ELj4ELNS0_20block_sort_algorithmE0EEEtN2at4cuda3cub6detail10OpaqueTypeILi8EEEEENS1_37wrapped_merge_sort_block_merge_configINS0_14default_configEtSC_EEEEvv
		.amdhsa_group_segment_fixed_size 0
		.amdhsa_private_segment_fixed_size 0
		.amdhsa_kernarg_size 0
		.amdhsa_user_sgpr_count 15
		.amdhsa_user_sgpr_dispatch_ptr 0
		.amdhsa_user_sgpr_queue_ptr 0
		.amdhsa_user_sgpr_kernarg_segment_ptr 0
		.amdhsa_user_sgpr_dispatch_id 0
		.amdhsa_user_sgpr_private_segment_size 0
		.amdhsa_wavefront_size32 1
		.amdhsa_uses_dynamic_stack 0
		.amdhsa_enable_private_segment 0
		.amdhsa_system_sgpr_workgroup_id_x 1
		.amdhsa_system_sgpr_workgroup_id_y 0
		.amdhsa_system_sgpr_workgroup_id_z 0
		.amdhsa_system_sgpr_workgroup_info 0
		.amdhsa_system_vgpr_workitem_id 0
		.amdhsa_next_free_vgpr 1
		.amdhsa_next_free_sgpr 1
		.amdhsa_reserve_vcc 0
		.amdhsa_float_round_mode_32 0
		.amdhsa_float_round_mode_16_64 0
		.amdhsa_float_denorm_mode_32 3
		.amdhsa_float_denorm_mode_16_64 3
		.amdhsa_dx10_clamp 1
		.amdhsa_ieee_mode 1
		.amdhsa_fp16_overflow 0
		.amdhsa_workgroup_processor_mode 1
		.amdhsa_memory_ordered 1
		.amdhsa_forward_progress 0
		.amdhsa_shared_vgpr_count 0
		.amdhsa_exception_fp_ieee_invalid_op 0
		.amdhsa_exception_fp_denorm_src 0
		.amdhsa_exception_fp_ieee_div_zero 0
		.amdhsa_exception_fp_ieee_overflow 0
		.amdhsa_exception_fp_ieee_underflow 0
		.amdhsa_exception_fp_ieee_inexact 0
		.amdhsa_exception_int_div_zero 0
	.end_amdhsa_kernel
	.section	.text._ZN7rocprim17ROCPRIM_304000_NS6detail39device_merge_sort_compile_time_verifierINS1_36wrapped_merge_sort_block_sort_configINS1_28merge_sort_block_sort_configILj256ELj4ELNS0_20block_sort_algorithmE0EEEtN2at4cuda3cub6detail10OpaqueTypeILi8EEEEENS1_37wrapped_merge_sort_block_merge_configINS0_14default_configEtSC_EEEEvv,"axG",@progbits,_ZN7rocprim17ROCPRIM_304000_NS6detail39device_merge_sort_compile_time_verifierINS1_36wrapped_merge_sort_block_sort_configINS1_28merge_sort_block_sort_configILj256ELj4ELNS0_20block_sort_algorithmE0EEEtN2at4cuda3cub6detail10OpaqueTypeILi8EEEEENS1_37wrapped_merge_sort_block_merge_configINS0_14default_configEtSC_EEEEvv,comdat
.Lfunc_end1:
	.size	_ZN7rocprim17ROCPRIM_304000_NS6detail39device_merge_sort_compile_time_verifierINS1_36wrapped_merge_sort_block_sort_configINS1_28merge_sort_block_sort_configILj256ELj4ELNS0_20block_sort_algorithmE0EEEtN2at4cuda3cub6detail10OpaqueTypeILi8EEEEENS1_37wrapped_merge_sort_block_merge_configINS0_14default_configEtSC_EEEEvv, .Lfunc_end1-_ZN7rocprim17ROCPRIM_304000_NS6detail39device_merge_sort_compile_time_verifierINS1_36wrapped_merge_sort_block_sort_configINS1_28merge_sort_block_sort_configILj256ELj4ELNS0_20block_sort_algorithmE0EEEtN2at4cuda3cub6detail10OpaqueTypeILi8EEEEENS1_37wrapped_merge_sort_block_merge_configINS0_14default_configEtSC_EEEEvv
                                        ; -- End function
	.section	.AMDGPU.csdata,"",@progbits
; Kernel info:
; codeLenInByte = 4
; NumSgprs: 0
; NumVgprs: 0
; ScratchSize: 0
; MemoryBound: 0
; FloatMode: 240
; IeeeMode: 1
; LDSByteSize: 0 bytes/workgroup (compile time only)
; SGPRBlocks: 0
; VGPRBlocks: 0
; NumSGPRsForWavesPerEU: 1
; NumVGPRsForWavesPerEU: 1
; Occupancy: 16
; WaveLimiterHint : 0
; COMPUTE_PGM_RSRC2:SCRATCH_EN: 0
; COMPUTE_PGM_RSRC2:USER_SGPR: 15
; COMPUTE_PGM_RSRC2:TRAP_HANDLER: 0
; COMPUTE_PGM_RSRC2:TGID_X_EN: 1
; COMPUTE_PGM_RSRC2:TGID_Y_EN: 0
; COMPUTE_PGM_RSRC2:TGID_Z_EN: 0
; COMPUTE_PGM_RSRC2:TIDIG_COMP_CNT: 0
	.section	.text._ZN7rocprim17ROCPRIM_304000_NS6detail45device_block_merge_mergepath_partition_kernelINS1_37wrapped_merge_sort_block_merge_configINS0_14default_configEtN2at4cuda3cub6detail10OpaqueTypeILi8EEEEEPtjNS1_19radix_merge_compareILb1ELb0EtNS0_19identity_decomposerEEEEEvT0_T1_jPSH_T2_SH_,"axG",@progbits,_ZN7rocprim17ROCPRIM_304000_NS6detail45device_block_merge_mergepath_partition_kernelINS1_37wrapped_merge_sort_block_merge_configINS0_14default_configEtN2at4cuda3cub6detail10OpaqueTypeILi8EEEEEPtjNS1_19radix_merge_compareILb1ELb0EtNS0_19identity_decomposerEEEEEvT0_T1_jPSH_T2_SH_,comdat
	.protected	_ZN7rocprim17ROCPRIM_304000_NS6detail45device_block_merge_mergepath_partition_kernelINS1_37wrapped_merge_sort_block_merge_configINS0_14default_configEtN2at4cuda3cub6detail10OpaqueTypeILi8EEEEEPtjNS1_19radix_merge_compareILb1ELb0EtNS0_19identity_decomposerEEEEEvT0_T1_jPSH_T2_SH_ ; -- Begin function _ZN7rocprim17ROCPRIM_304000_NS6detail45device_block_merge_mergepath_partition_kernelINS1_37wrapped_merge_sort_block_merge_configINS0_14default_configEtN2at4cuda3cub6detail10OpaqueTypeILi8EEEEEPtjNS1_19radix_merge_compareILb1ELb0EtNS0_19identity_decomposerEEEEEvT0_T1_jPSH_T2_SH_
	.globl	_ZN7rocprim17ROCPRIM_304000_NS6detail45device_block_merge_mergepath_partition_kernelINS1_37wrapped_merge_sort_block_merge_configINS0_14default_configEtN2at4cuda3cub6detail10OpaqueTypeILi8EEEEEPtjNS1_19radix_merge_compareILb1ELb0EtNS0_19identity_decomposerEEEEEvT0_T1_jPSH_T2_SH_
	.p2align	8
	.type	_ZN7rocprim17ROCPRIM_304000_NS6detail45device_block_merge_mergepath_partition_kernelINS1_37wrapped_merge_sort_block_merge_configINS0_14default_configEtN2at4cuda3cub6detail10OpaqueTypeILi8EEEEEPtjNS1_19radix_merge_compareILb1ELb0EtNS0_19identity_decomposerEEEEEvT0_T1_jPSH_T2_SH_,@function
_ZN7rocprim17ROCPRIM_304000_NS6detail45device_block_merge_mergepath_partition_kernelINS1_37wrapped_merge_sort_block_merge_configINS0_14default_configEtN2at4cuda3cub6detail10OpaqueTypeILi8EEEEEPtjNS1_19radix_merge_compareILb1ELb0EtNS0_19identity_decomposerEEEEEvT0_T1_jPSH_T2_SH_: ; @_ZN7rocprim17ROCPRIM_304000_NS6detail45device_block_merge_mergepath_partition_kernelINS1_37wrapped_merge_sort_block_merge_configINS0_14default_configEtN2at4cuda3cub6detail10OpaqueTypeILi8EEEEEPtjNS1_19radix_merge_compareILb1ELb0EtNS0_19identity_decomposerEEEEEvT0_T1_jPSH_T2_SH_
; %bb.0:
	s_load_b64 s[2:3], s[0:1], 0x8
	v_lshl_or_b32 v0, s15, 7, v0
	s_waitcnt lgkmcnt(0)
	s_delay_alu instid0(VALU_DEP_1)
	v_cmp_gt_u32_e32 vcc_lo, s3, v0
	s_and_saveexec_b32 s3, vcc_lo
	s_cbranch_execz .LBB2_6
; %bb.1:
	s_load_b32 s3, s[0:1], 0x1c
	s_waitcnt lgkmcnt(0)
	s_lshr_b32 s4, s3, 9
	s_delay_alu instid0(SALU_CYCLE_1) | instskip(NEXT) | instid1(SALU_CYCLE_1)
	s_and_b32 s4, s4, 0x7ffffe
	s_sub_i32 s5, 0, s4
	s_add_i32 s4, s4, -1
	v_and_b32_e32 v1, s5, v0
	v_and_b32_e32 v5, s4, v0
	s_delay_alu instid0(VALU_DEP_2) | instskip(NEXT) | instid1(VALU_DEP_1)
	v_lshlrev_b32_e32 v1, 10, v1
	v_add_nc_u32_e32 v2, s3, v1
	s_delay_alu instid0(VALU_DEP_1) | instskip(SKIP_1) | instid1(VALU_DEP_2)
	v_min_u32_e32 v4, s2, v2
	v_min_u32_e32 v2, s2, v1
	v_add_nc_u32_e32 v3, s3, v4
	s_delay_alu instid0(VALU_DEP_1) | instskip(SKIP_2) | instid1(VALU_DEP_2)
	v_min_u32_e32 v1, s2, v3
	v_lshlrev_b32_e32 v3, 10, v5
	s_mov_b32 s2, exec_lo
	v_sub_nc_u32_e32 v5, v1, v2
	v_sub_nc_u32_e32 v6, v1, v4
	s_delay_alu instid0(VALU_DEP_2) | instskip(SKIP_1) | instid1(VALU_DEP_2)
	v_min_u32_e32 v1, v5, v3
	v_sub_nc_u32_e32 v3, v4, v2
	v_sub_nc_u32_e64 v6, v1, v6 clamp
	s_delay_alu instid0(VALU_DEP_2) | instskip(NEXT) | instid1(VALU_DEP_1)
	v_min_u32_e32 v7, v1, v3
	v_cmpx_lt_u32_e64 v6, v7
	s_cbranch_execz .LBB2_5
; %bb.2:
	s_load_b64 s[4:5], s[0:1], 0x0
	v_mov_b32_e32 v5, 0
	s_mov_b32 s3, 0
	s_delay_alu instid0(VALU_DEP_1) | instskip(SKIP_1) | instid1(VALU_DEP_2)
	v_mov_b32_e32 v3, v5
	v_lshlrev_b64 v[10:11], 1, v[4:5]
	v_lshlrev_b64 v[8:9], 1, v[2:3]
	s_waitcnt lgkmcnt(0)
	s_delay_alu instid0(VALU_DEP_1) | instskip(NEXT) | instid1(VALU_DEP_2)
	v_add_co_u32 v3, vcc_lo, s4, v8
	v_add_co_ci_u32_e32 v8, vcc_lo, s5, v9, vcc_lo
	s_delay_alu instid0(VALU_DEP_4)
	v_add_co_u32 v9, vcc_lo, s4, v10
	v_add_co_ci_u32_e32 v10, vcc_lo, s5, v11, vcc_lo
	.p2align	6
.LBB2_3:                                ; =>This Inner Loop Header: Depth=1
	v_add_nc_u32_e32 v4, v7, v6
	s_delay_alu instid0(VALU_DEP_1) | instskip(SKIP_1) | instid1(VALU_DEP_2)
	v_lshrrev_b32_e32 v15, 1, v4
	v_and_b32_e32 v11, -2, v4
	v_xad_u32 v4, v15, -1, v1
	s_delay_alu instid0(VALU_DEP_2) | instskip(SKIP_1) | instid1(VALU_DEP_3)
	v_add_co_u32 v11, vcc_lo, v3, v11
	v_add_co_ci_u32_e32 v12, vcc_lo, 0, v8, vcc_lo
	v_lshlrev_b64 v[13:14], 1, v[4:5]
	s_delay_alu instid0(VALU_DEP_1) | instskip(NEXT) | instid1(VALU_DEP_2)
	v_add_co_u32 v13, vcc_lo, v9, v13
	v_add_co_ci_u32_e32 v14, vcc_lo, v10, v14, vcc_lo
	s_clause 0x1
	global_load_u16 v4, v[11:12], off
	global_load_u16 v11, v[13:14], off
	v_add_nc_u32_e32 v12, 1, v15
	s_waitcnt vmcnt(0)
	v_cmp_gt_u16_e32 vcc_lo, v11, v4
	s_delay_alu instid0(VALU_DEP_2) | instskip(NEXT) | instid1(VALU_DEP_1)
	v_dual_cndmask_b32 v6, v12, v6 :: v_dual_cndmask_b32 v7, v7, v15
	v_cmp_ge_u32_e32 vcc_lo, v6, v7
	s_or_b32 s3, vcc_lo, s3
	s_delay_alu instid0(SALU_CYCLE_1)
	s_and_not1_b32 exec_lo, exec_lo, s3
	s_cbranch_execnz .LBB2_3
; %bb.4:
	s_or_b32 exec_lo, exec_lo, s3
.LBB2_5:
	s_delay_alu instid0(SALU_CYCLE_1) | instskip(SKIP_2) | instid1(VALU_DEP_1)
	s_or_b32 exec_lo, exec_lo, s2
	s_load_b64 s[0:1], s[0:1], 0x10
	v_dual_mov_b32 v1, 0 :: v_dual_add_nc_u32 v2, v6, v2
	v_lshlrev_b64 v[0:1], 2, v[0:1]
	s_waitcnt lgkmcnt(0)
	s_delay_alu instid0(VALU_DEP_1) | instskip(NEXT) | instid1(VALU_DEP_2)
	v_add_co_u32 v0, vcc_lo, s0, v0
	v_add_co_ci_u32_e32 v1, vcc_lo, s1, v1, vcc_lo
	global_store_b32 v[0:1], v2, off
.LBB2_6:
	s_nop 0
	s_sendmsg sendmsg(MSG_DEALLOC_VGPRS)
	s_endpgm
	.section	.rodata,"a",@progbits
	.p2align	6, 0x0
	.amdhsa_kernel _ZN7rocprim17ROCPRIM_304000_NS6detail45device_block_merge_mergepath_partition_kernelINS1_37wrapped_merge_sort_block_merge_configINS0_14default_configEtN2at4cuda3cub6detail10OpaqueTypeILi8EEEEEPtjNS1_19radix_merge_compareILb1ELb0EtNS0_19identity_decomposerEEEEEvT0_T1_jPSH_T2_SH_
		.amdhsa_group_segment_fixed_size 0
		.amdhsa_private_segment_fixed_size 0
		.amdhsa_kernarg_size 32
		.amdhsa_user_sgpr_count 15
		.amdhsa_user_sgpr_dispatch_ptr 0
		.amdhsa_user_sgpr_queue_ptr 0
		.amdhsa_user_sgpr_kernarg_segment_ptr 1
		.amdhsa_user_sgpr_dispatch_id 0
		.amdhsa_user_sgpr_private_segment_size 0
		.amdhsa_wavefront_size32 1
		.amdhsa_uses_dynamic_stack 0
		.amdhsa_enable_private_segment 0
		.amdhsa_system_sgpr_workgroup_id_x 1
		.amdhsa_system_sgpr_workgroup_id_y 0
		.amdhsa_system_sgpr_workgroup_id_z 0
		.amdhsa_system_sgpr_workgroup_info 0
		.amdhsa_system_vgpr_workitem_id 0
		.amdhsa_next_free_vgpr 16
		.amdhsa_next_free_sgpr 16
		.amdhsa_reserve_vcc 1
		.amdhsa_float_round_mode_32 0
		.amdhsa_float_round_mode_16_64 0
		.amdhsa_float_denorm_mode_32 3
		.amdhsa_float_denorm_mode_16_64 3
		.amdhsa_dx10_clamp 1
		.amdhsa_ieee_mode 1
		.amdhsa_fp16_overflow 0
		.amdhsa_workgroup_processor_mode 1
		.amdhsa_memory_ordered 1
		.amdhsa_forward_progress 0
		.amdhsa_shared_vgpr_count 0
		.amdhsa_exception_fp_ieee_invalid_op 0
		.amdhsa_exception_fp_denorm_src 0
		.amdhsa_exception_fp_ieee_div_zero 0
		.amdhsa_exception_fp_ieee_overflow 0
		.amdhsa_exception_fp_ieee_underflow 0
		.amdhsa_exception_fp_ieee_inexact 0
		.amdhsa_exception_int_div_zero 0
	.end_amdhsa_kernel
	.section	.text._ZN7rocprim17ROCPRIM_304000_NS6detail45device_block_merge_mergepath_partition_kernelINS1_37wrapped_merge_sort_block_merge_configINS0_14default_configEtN2at4cuda3cub6detail10OpaqueTypeILi8EEEEEPtjNS1_19radix_merge_compareILb1ELb0EtNS0_19identity_decomposerEEEEEvT0_T1_jPSH_T2_SH_,"axG",@progbits,_ZN7rocprim17ROCPRIM_304000_NS6detail45device_block_merge_mergepath_partition_kernelINS1_37wrapped_merge_sort_block_merge_configINS0_14default_configEtN2at4cuda3cub6detail10OpaqueTypeILi8EEEEEPtjNS1_19radix_merge_compareILb1ELb0EtNS0_19identity_decomposerEEEEEvT0_T1_jPSH_T2_SH_,comdat
.Lfunc_end2:
	.size	_ZN7rocprim17ROCPRIM_304000_NS6detail45device_block_merge_mergepath_partition_kernelINS1_37wrapped_merge_sort_block_merge_configINS0_14default_configEtN2at4cuda3cub6detail10OpaqueTypeILi8EEEEEPtjNS1_19radix_merge_compareILb1ELb0EtNS0_19identity_decomposerEEEEEvT0_T1_jPSH_T2_SH_, .Lfunc_end2-_ZN7rocprim17ROCPRIM_304000_NS6detail45device_block_merge_mergepath_partition_kernelINS1_37wrapped_merge_sort_block_merge_configINS0_14default_configEtN2at4cuda3cub6detail10OpaqueTypeILi8EEEEEPtjNS1_19radix_merge_compareILb1ELb0EtNS0_19identity_decomposerEEEEEvT0_T1_jPSH_T2_SH_
                                        ; -- End function
	.section	.AMDGPU.csdata,"",@progbits
; Kernel info:
; codeLenInByte = 452
; NumSgprs: 18
; NumVgprs: 16
; ScratchSize: 0
; MemoryBound: 0
; FloatMode: 240
; IeeeMode: 1
; LDSByteSize: 0 bytes/workgroup (compile time only)
; SGPRBlocks: 2
; VGPRBlocks: 1
; NumSGPRsForWavesPerEU: 18
; NumVGPRsForWavesPerEU: 16
; Occupancy: 16
; WaveLimiterHint : 0
; COMPUTE_PGM_RSRC2:SCRATCH_EN: 0
; COMPUTE_PGM_RSRC2:USER_SGPR: 15
; COMPUTE_PGM_RSRC2:TRAP_HANDLER: 0
; COMPUTE_PGM_RSRC2:TGID_X_EN: 1
; COMPUTE_PGM_RSRC2:TGID_Y_EN: 0
; COMPUTE_PGM_RSRC2:TGID_Z_EN: 0
; COMPUTE_PGM_RSRC2:TIDIG_COMP_CNT: 0
	.section	.text._ZN7rocprim17ROCPRIM_304000_NS6detail35device_block_merge_mergepath_kernelINS1_37wrapped_merge_sort_block_merge_configINS0_14default_configEtN2at4cuda3cub6detail10OpaqueTypeILi8EEEEEPtSC_PSA_SD_jNS1_19radix_merge_compareILb1ELb0EtNS0_19identity_decomposerEEEEEvT0_T1_T2_T3_T4_SL_jT5_PKSL_NS1_7vsmem_tE,"axG",@progbits,_ZN7rocprim17ROCPRIM_304000_NS6detail35device_block_merge_mergepath_kernelINS1_37wrapped_merge_sort_block_merge_configINS0_14default_configEtN2at4cuda3cub6detail10OpaqueTypeILi8EEEEEPtSC_PSA_SD_jNS1_19radix_merge_compareILb1ELb0EtNS0_19identity_decomposerEEEEEvT0_T1_T2_T3_T4_SL_jT5_PKSL_NS1_7vsmem_tE,comdat
	.protected	_ZN7rocprim17ROCPRIM_304000_NS6detail35device_block_merge_mergepath_kernelINS1_37wrapped_merge_sort_block_merge_configINS0_14default_configEtN2at4cuda3cub6detail10OpaqueTypeILi8EEEEEPtSC_PSA_SD_jNS1_19radix_merge_compareILb1ELb0EtNS0_19identity_decomposerEEEEEvT0_T1_T2_T3_T4_SL_jT5_PKSL_NS1_7vsmem_tE ; -- Begin function _ZN7rocprim17ROCPRIM_304000_NS6detail35device_block_merge_mergepath_kernelINS1_37wrapped_merge_sort_block_merge_configINS0_14default_configEtN2at4cuda3cub6detail10OpaqueTypeILi8EEEEEPtSC_PSA_SD_jNS1_19radix_merge_compareILb1ELb0EtNS0_19identity_decomposerEEEEEvT0_T1_T2_T3_T4_SL_jT5_PKSL_NS1_7vsmem_tE
	.globl	_ZN7rocprim17ROCPRIM_304000_NS6detail35device_block_merge_mergepath_kernelINS1_37wrapped_merge_sort_block_merge_configINS0_14default_configEtN2at4cuda3cub6detail10OpaqueTypeILi8EEEEEPtSC_PSA_SD_jNS1_19radix_merge_compareILb1ELb0EtNS0_19identity_decomposerEEEEEvT0_T1_T2_T3_T4_SL_jT5_PKSL_NS1_7vsmem_tE
	.p2align	8
	.type	_ZN7rocprim17ROCPRIM_304000_NS6detail35device_block_merge_mergepath_kernelINS1_37wrapped_merge_sort_block_merge_configINS0_14default_configEtN2at4cuda3cub6detail10OpaqueTypeILi8EEEEEPtSC_PSA_SD_jNS1_19radix_merge_compareILb1ELb0EtNS0_19identity_decomposerEEEEEvT0_T1_T2_T3_T4_SL_jT5_PKSL_NS1_7vsmem_tE,@function
_ZN7rocprim17ROCPRIM_304000_NS6detail35device_block_merge_mergepath_kernelINS1_37wrapped_merge_sort_block_merge_configINS0_14default_configEtN2at4cuda3cub6detail10OpaqueTypeILi8EEEEEPtSC_PSA_SD_jNS1_19radix_merge_compareILb1ELb0EtNS0_19identity_decomposerEEEEEvT0_T1_T2_T3_T4_SL_jT5_PKSL_NS1_7vsmem_tE: ; @_ZN7rocprim17ROCPRIM_304000_NS6detail35device_block_merge_mergepath_kernelINS1_37wrapped_merge_sort_block_merge_configINS0_14default_configEtN2at4cuda3cub6detail10OpaqueTypeILi8EEEEEPtSC_PSA_SD_jNS1_19radix_merge_compareILb1ELb0EtNS0_19identity_decomposerEEEEEvT0_T1_T2_T3_T4_SL_jT5_PKSL_NS1_7vsmem_tE
; %bb.0:
	s_clause 0x1
	s_load_b64 s[22:23], s[0:1], 0x40
	s_load_b128 s[16:19], s[0:1], 0x20
	s_add_u32 s20, s0, 64
	s_addc_u32 s21, s1, 0
	s_waitcnt lgkmcnt(0)
	s_mul_i32 s2, s23, s15
	s_delay_alu instid0(SALU_CYCLE_1) | instskip(NEXT) | instid1(SALU_CYCLE_1)
	s_add_i32 s2, s2, s14
	s_mul_i32 s2, s2, s22
	s_delay_alu instid0(SALU_CYCLE_1) | instskip(NEXT) | instid1(SALU_CYCLE_1)
	s_add_i32 s2, s2, s13
	s_cmp_ge_u32 s2, s18
	s_cbranch_scc1 .LBB3_53
; %bb.1:
	s_load_b64 s[4:5], s[0:1], 0x30
	s_lshr_b32 s27, s16, 10
	s_mov_b32 s15, 0
	s_cmp_lg_u32 s2, s27
	s_mov_b32 s3, s15
	s_cselect_b32 s23, -1, 0
	s_lshl_b64 s[6:7], s[2:3], 2
	v_mov_b32_e32 v4, 0
	s_mov_b32 s19, s15
	v_lshlrev_b32_e32 v5, 1, v0
	s_waitcnt lgkmcnt(0)
	s_add_u32 s4, s4, s6
	s_addc_u32 s5, s5, s7
	s_lshl_b32 s12, s2, 10
	s_load_b64 s[24:25], s[4:5], 0x0
	s_load_b256 s[4:11], s[0:1], 0x0
	global_load_b32 v1, v4, s[20:21] offset:14
	s_lshr_b32 s0, s17, 9
	s_delay_alu instid0(SALU_CYCLE_1) | instskip(NEXT) | instid1(SALU_CYCLE_1)
	s_and_b32 s0, s0, 0x7ffffe
	s_sub_i32 s0, 0, s0
	s_delay_alu instid0(SALU_CYCLE_1)
	s_and_b32 s1, s2, s0
	s_or_b32 s0, s2, s0
	s_lshl_b32 s3, s1, 11
	s_lshl_b32 s1, s1, 10
	s_add_i32 s3, s3, s17
	s_sub_i32 s14, s12, s1
	s_sub_i32 s1, s3, s1
	s_add_i32 s3, s3, s14
	s_min_u32 s26, s16, s1
	s_add_i32 s1, s1, s17
	s_waitcnt lgkmcnt(0)
	s_sub_i32 s14, s3, s24
	s_sub_i32 s3, s3, s25
	s_min_u32 s18, s16, s14
	s_addk_i32 s3, 0x400
	s_cmp_eq_u32 s0, -1
	s_mov_b32 s14, s24
	s_cselect_b32 s3, s1, s3
	s_cselect_b32 s17, s26, s25
	s_min_u32 s3, s3, s16
	s_lshl_b64 s[0:1], s[14:15], 1
	s_sub_i32 s17, s17, s24
	s_sub_i32 s24, s3, s18
	s_add_u32 s25, s4, s0
	s_addc_u32 s26, s5, s1
	s_lshl_b64 s[28:29], s[18:19], 1
	v_cmp_gt_u32_e32 vcc_lo, s17, v0
	s_add_u32 s1, s4, s28
	s_addc_u32 s4, s5, s29
	s_cmp_lt_u32 s13, s22
	s_cselect_b32 s0, 12, 18
	s_delay_alu instid0(SALU_CYCLE_1)
	s_add_u32 s20, s20, s0
	s_addc_u32 s21, s21, 0
	s_cmp_eq_u32 s2, s27
	s_mov_b32 s0, -1
	s_waitcnt vmcnt(0)
	v_lshrrev_b32_e32 v3, 16, v1
	v_and_b32_e32 v1, 0xffff, v1
	global_load_u16 v2, v4, s[20:21]
	v_mul_lo_u32 v1, v1, v3
	s_waitcnt vmcnt(0)
	s_delay_alu instid0(VALU_DEP_1) | instskip(NEXT) | instid1(VALU_DEP_1)
	v_mul_lo_u32 v1, v1, v2
	v_add_nc_u32_e32 v1, v1, v0
	s_cbranch_scc1 .LBB3_3
; %bb.2:
	v_subrev_nc_u32_e32 v3, s17, v0
	v_add_co_u32 v6, s0, s25, v5
	s_delay_alu instid0(VALU_DEP_1) | instskip(NEXT) | instid1(VALU_DEP_3)
	v_add_co_ci_u32_e64 v7, null, s26, 0, s0
	v_lshlrev_b64 v[2:3], 1, v[3:4]
	s_add_i32 s3, s24, s17
	s_delay_alu instid0(VALU_DEP_1) | instskip(NEXT) | instid1(VALU_DEP_1)
	v_add_co_u32 v2, s0, s1, v2
	v_add_co_ci_u32_e64 v3, s0, s4, v3, s0
	s_mov_b32 s0, s15
	s_delay_alu instid0(VALU_DEP_1) | instskip(SKIP_3) | instid1(VALU_DEP_2)
	v_dual_cndmask_b32 v2, v2, v6 :: v_dual_cndmask_b32 v3, v3, v7
	global_load_u16 v6, v[2:3], off
	v_mov_b32_e32 v2, v4
	v_subrev_nc_u32_e32 v3, s17, v1
	v_lshlrev_b64 v[7:8], 1, v[1:2]
	s_delay_alu instid0(VALU_DEP_2) | instskip(NEXT) | instid1(VALU_DEP_2)
	v_lshlrev_b64 v[2:3], 1, v[3:4]
	v_add_co_u32 v4, vcc_lo, s25, v7
	s_delay_alu instid0(VALU_DEP_3) | instskip(NEXT) | instid1(VALU_DEP_3)
	v_add_co_ci_u32_e32 v7, vcc_lo, s26, v8, vcc_lo
	v_add_co_u32 v2, vcc_lo, s1, v2
	s_delay_alu instid0(VALU_DEP_4) | instskip(SKIP_1) | instid1(VALU_DEP_2)
	v_add_co_ci_u32_e32 v3, vcc_lo, s4, v3, vcc_lo
	v_cmp_gt_u32_e32 vcc_lo, s17, v1
	v_dual_cndmask_b32 v3, v3, v7 :: v_dual_cndmask_b32 v2, v2, v4
	global_load_d16_hi_b16 v6, v[2:3], off
	s_and_not1_b32 vcc_lo, exec_lo, s0
	s_cbranch_vccz .LBB3_4
	s_branch .LBB3_9
.LBB3_3:
                                        ; implicit-def: $vgpr6
                                        ; implicit-def: $sgpr3
	s_and_not1_b32 vcc_lo, exec_lo, s0
	s_cbranch_vccnz .LBB3_9
.LBB3_4:
	s_add_i32 s3, s24, s17
	s_mov_b32 s0, exec_lo
                                        ; implicit-def: $vgpr6
	v_cmpx_gt_u32_e64 s3, v0
	s_cbranch_execz .LBB3_6
; %bb.5:
	v_subrev_nc_u32_e32 v2, s17, v0
	v_add_co_u32 v4, s2, s25, v5
	v_mov_b32_e32 v3, 0
	s_waitcnt vmcnt(0)
	v_add_co_ci_u32_e64 v6, null, s26, 0, s2
	s_delay_alu instid0(VALU_DEP_2) | instskip(NEXT) | instid1(VALU_DEP_1)
	v_lshlrev_b64 v[2:3], 1, v[2:3]
	v_add_co_u32 v2, vcc_lo, s1, v2
	s_delay_alu instid0(VALU_DEP_2) | instskip(SKIP_1) | instid1(VALU_DEP_2)
	v_add_co_ci_u32_e32 v3, vcc_lo, s4, v3, vcc_lo
	v_cmp_gt_u32_e32 vcc_lo, s17, v0
	v_dual_cndmask_b32 v2, v2, v4 :: v_dual_cndmask_b32 v3, v3, v6
	global_load_d16_b16 v6, v[2:3], off
.LBB3_6:
	s_or_b32 exec_lo, exec_lo, s0
	s_delay_alu instid0(SALU_CYCLE_1)
	s_mov_b32 s2, exec_lo
	v_cmpx_gt_u32_e64 s3, v1
	s_cbranch_execz .LBB3_8
; %bb.7:
	v_mov_b32_e32 v2, 0
	s_delay_alu instid0(VALU_DEP_1) | instskip(NEXT) | instid1(VALU_DEP_1)
	v_lshlrev_b64 v[3:4], 1, v[1:2]
	v_add_co_u32 v3, vcc_lo, s25, v3
	s_delay_alu instid0(VALU_DEP_2) | instskip(SKIP_2) | instid1(VALU_DEP_1)
	v_add_co_ci_u32_e32 v4, vcc_lo, s26, v4, vcc_lo
	v_cmp_gt_u32_e32 vcc_lo, s17, v1
	v_subrev_nc_u32_e32 v1, s17, v1
	v_lshlrev_b64 v[1:2], 1, v[1:2]
	s_delay_alu instid0(VALU_DEP_1) | instskip(NEXT) | instid1(VALU_DEP_1)
	v_add_co_u32 v1, s0, s1, v1
	v_add_co_ci_u32_e64 v2, s0, s4, v2, s0
	s_delay_alu instid0(VALU_DEP_1)
	v_dual_cndmask_b32 v1, v1, v3 :: v_dual_cndmask_b32 v2, v2, v4
	global_load_d16_hi_b16 v6, v[1:2], off
.LBB3_8:
	s_or_b32 exec_lo, exec_lo, s2
.LBB3_9:
	v_min_u32_e32 v2, s3, v5
	s_mov_b32 s0, exec_lo
	s_waitcnt vmcnt(0)
	ds_store_b16 v5, v6
	ds_store_b16_d16_hi v5, v6 offset:1024
	s_waitcnt lgkmcnt(0)
	s_barrier
	v_sub_nc_u32_e64 v1, v2, s24 clamp
	v_min_u32_e32 v3, s17, v2
	buffer_gl0_inv
	v_cmpx_lt_u32_e64 v1, v3
	s_cbranch_execz .LBB3_13
; %bb.10:
	v_lshlrev_b32_e32 v4, 1, v2
	s_mov_b32 s1, 0
	s_delay_alu instid0(VALU_DEP_1)
	v_lshl_add_u32 v4, s17, 1, v4
	.p2align	6
.LBB3_11:                               ; =>This Inner Loop Header: Depth=1
	v_add_nc_u32_e32 v7, v3, v1
	s_delay_alu instid0(VALU_DEP_1) | instskip(SKIP_1) | instid1(VALU_DEP_2)
	v_lshrrev_b32_e32 v8, 1, v7
	v_and_b32_e32 v7, -2, v7
	v_not_b32_e32 v9, v8
	v_add_nc_u32_e32 v10, 1, v8
	s_delay_alu instid0(VALU_DEP_2)
	v_lshl_add_u32 v9, v9, 1, v4
	ds_load_u16 v7, v7
	ds_load_u16 v9, v9
	s_waitcnt lgkmcnt(0)
	v_cmp_gt_u16_e32 vcc_lo, v9, v7
	v_cndmask_b32_e32 v3, v3, v8, vcc_lo
	v_cndmask_b32_e32 v1, v10, v1, vcc_lo
	s_delay_alu instid0(VALU_DEP_1) | instskip(SKIP_1) | instid1(SALU_CYCLE_1)
	v_cmp_ge_u32_e32 vcc_lo, v1, v3
	s_or_b32 s1, vcc_lo, s1
	s_and_not1_b32 exec_lo, exec_lo, s1
	s_cbranch_execnz .LBB3_11
; %bb.12:
	s_or_b32 exec_lo, exec_lo, s1
.LBB3_13:
	s_delay_alu instid0(SALU_CYCLE_1) | instskip(SKIP_2) | instid1(VALU_DEP_2)
	s_or_b32 exec_lo, exec_lo, s0
	v_sub_nc_u32_e32 v2, v2, v1
	v_cmp_ge_u32_e32 vcc_lo, s17, v1
                                        ; implicit-def: $vgpr8
                                        ; implicit-def: $vgpr9
	v_add_nc_u32_e32 v2, s17, v2
	s_delay_alu instid0(VALU_DEP_1) | instskip(NEXT) | instid1(VALU_DEP_1)
	v_cmp_ge_u32_e64 s0, s3, v2
	s_or_b32 s0, vcc_lo, s0
	s_delay_alu instid0(SALU_CYCLE_1)
	s_and_saveexec_b32 s4, s0
	s_cbranch_execz .LBB3_19
; %bb.14:
	v_cmp_gt_u32_e32 vcc_lo, s17, v1
                                        ; implicit-def: $vgpr3
	s_and_saveexec_b32 s0, vcc_lo
	s_cbranch_execz .LBB3_16
; %bb.15:
	v_lshlrev_b32_e32 v3, 1, v1
	ds_load_u16 v3, v3
.LBB3_16:
	s_or_b32 exec_lo, exec_lo, s0
	v_cmp_le_u32_e64 s0, s3, v2
	s_mov_b32 s2, exec_lo
                                        ; implicit-def: $vgpr4
	v_cmpx_gt_u32_e64 s3, v2
	s_cbranch_execz .LBB3_18
; %bb.17:
	v_lshlrev_b32_e32 v4, 1, v2
	ds_load_u16 v4, v4
.LBB3_18:
	s_or_b32 exec_lo, exec_lo, s2
	s_waitcnt lgkmcnt(0)
	v_cmp_le_u16_e64 s1, v4, v3
	s_delay_alu instid0(VALU_DEP_1) | instskip(NEXT) | instid1(SALU_CYCLE_1)
	s_and_b32 s1, vcc_lo, s1
	s_or_b32 vcc_lo, s0, s1
	v_dual_mov_b32 v6, s17 :: v_dual_cndmask_b32 v9, v2, v1
	s_delay_alu instid0(VALU_DEP_1) | instskip(NEXT) | instid1(VALU_DEP_1)
	v_dual_cndmask_b32 v6, s3, v6 :: v_dual_add_nc_u32 v7, 1, v9
	v_dual_cndmask_b32 v1, v1, v7 :: v_dual_add_nc_u32 v6, -1, v6
	v_cndmask_b32_e32 v2, v7, v2, vcc_lo
	s_delay_alu instid0(VALU_DEP_2) | instskip(NEXT) | instid1(VALU_DEP_3)
	v_min_u32_e32 v6, v7, v6
	v_cmp_gt_u32_e64 s0, s17, v1
	s_delay_alu instid0(VALU_DEP_3) | instskip(NEXT) | instid1(VALU_DEP_3)
	v_cmp_le_u32_e64 s2, s3, v2
	v_lshlrev_b32_e32 v6, 1, v6
	ds_load_u16 v6, v6
	s_waitcnt lgkmcnt(0)
	v_cndmask_b32_e32 v10, v6, v4, vcc_lo
	v_dual_cndmask_b32 v6, v3, v6 :: v_dual_cndmask_b32 v3, v4, v3
	s_delay_alu instid0(VALU_DEP_1) | instskip(NEXT) | instid1(VALU_DEP_1)
	v_cmp_le_u16_e64 s1, v10, v6
	s_and_b32 s0, s0, s1
	s_delay_alu instid0(SALU_CYCLE_1) | instskip(SKIP_2) | instid1(VALU_DEP_1)
	s_or_b32 vcc_lo, s2, s0
	v_cndmask_b32_e32 v8, v2, v1, vcc_lo
	v_cndmask_b32_e32 v1, v10, v6, vcc_lo
	v_perm_b32 v6, v1, v3, 0x5040100
.LBB3_19:
	s_or_b32 exec_lo, exec_lo, s4
	s_lshl_b64 s[0:1], s[14:15], 3
	v_or_b32_e32 v7, 0x200, v0
	s_add_u32 s2, s8, s0
	s_addc_u32 s4, s9, s1
	s_lshl_b64 s[14:15], s[18:19], 3
	v_cmp_gt_u32_e64 s1, s17, v0
	v_cmp_le_u32_e64 s0, s17, v0
	s_add_u32 s8, s8, s14
	s_mov_b32 s5, 0
	s_addc_u32 s9, s9, s15
	s_and_not1_b32 vcc_lo, exec_lo, s23
	s_barrier
	buffer_gl0_inv
	s_cbranch_vccnz .LBB3_21
; %bb.20:
	v_subrev_nc_u32_e32 v1, s17, v0
	v_mov_b32_e32 v2, 0
	v_lshlrev_b32_e32 v12, 3, v0
	s_delay_alu instid0(VALU_DEP_2) | instskip(NEXT) | instid1(VALU_DEP_2)
	v_lshlrev_b64 v[3:4], 3, v[1:2]
	v_add_co_u32 v13, s5, s2, v12
	s_delay_alu instid0(VALU_DEP_1) | instskip(SKIP_1) | instid1(VALU_DEP_3)
	v_add_co_ci_u32_e64 v14, null, s4, 0, s5
	s_mov_b32 s5, -1
	v_add_co_u32 v1, vcc_lo, s8, v3
	s_delay_alu instid0(VALU_DEP_4) | instskip(NEXT) | instid1(VALU_DEP_1)
	v_add_co_ci_u32_e32 v3, vcc_lo, s9, v4, vcc_lo
	v_cndmask_b32_e64 v4, v3, v14, s1
	s_delay_alu instid0(VALU_DEP_3)
	v_cndmask_b32_e64 v3, v1, v13, s1
	v_subrev_nc_u32_e32 v1, s17, v7
	global_load_b64 v[10:11], v[3:4], off
	v_lshlrev_b64 v[1:2], 3, v[1:2]
	v_add_co_u32 v3, vcc_lo, 0x1000, v13
	v_add_co_ci_u32_e32 v4, vcc_lo, 0, v14, vcc_lo
	s_delay_alu instid0(VALU_DEP_3) | instskip(NEXT) | instid1(VALU_DEP_4)
	v_add_co_u32 v1, vcc_lo, s8, v1
	v_add_co_ci_u32_e32 v2, vcc_lo, s9, v2, vcc_lo
	v_cmp_gt_u32_e32 vcc_lo, s17, v7
	s_delay_alu instid0(VALU_DEP_2)
	v_dual_cndmask_b32 v1, v1, v3 :: v_dual_cndmask_b32 v2, v2, v4
	v_or_b32_e32 v4, 0x1000, v12
	s_waitcnt vmcnt(0)
	ds_store_b64 v12, v[10:11]
	s_cbranch_execz .LBB3_22
	s_branch .LBB3_33
.LBB3_21:
                                        ; implicit-def: $vgpr4
                                        ; implicit-def: $vgpr1_vgpr2
.LBB3_22:
	s_mov_b32 s1, 0
                                        ; implicit-def: $vgpr1_vgpr2
	s_and_saveexec_b32 s13, s0
	s_delay_alu instid0(SALU_CYCLE_1)
	s_xor_b32 s0, exec_lo, s13
	s_cbranch_execnz .LBB3_54
; %bb.23:
	s_and_not1_saveexec_b32 s0, s0
	s_cbranch_execnz .LBB3_57
.LBB3_24:
	s_or_b32 exec_lo, exec_lo, s0
	s_and_saveexec_b32 s0, s1
	s_cbranch_execz .LBB3_26
.LBB3_25:
	global_load_b64 v[1:2], v[1:2], off
	v_mad_u32_u24 v3, v0, 6, v5
	s_waitcnt vmcnt(0)
	ds_store_b64 v3, v[1:2]
.LBB3_26:
	s_or_b32 exec_lo, exec_lo, s0
	s_delay_alu instid0(SALU_CYCLE_1)
	s_mov_b32 s0, exec_lo
                                        ; implicit-def: $vgpr4
                                        ; implicit-def: $vgpr1_vgpr2
	v_cmpx_le_u32_e64 s17, v7
	s_xor_b32 s0, exec_lo, s0
	s_cbranch_execz .LBB3_30
; %bb.27:
	v_subrev_nc_u32_e32 v3, s17, v7
	s_mov_b32 s13, s5
	s_mov_b32 s1, exec_lo
                                        ; implicit-def: $vgpr4
                                        ; implicit-def: $vgpr1_vgpr2
	s_delay_alu instid0(VALU_DEP_1)
	v_cmpx_gt_u32_e64 s24, v3
; %bb.28:
	v_mov_b32_e32 v4, 0
	v_mul_u32_u24_e32 v10, 6, v0
	s_or_b32 s13, s5, exec_lo
	s_delay_alu instid0(VALU_DEP_2) | instskip(NEXT) | instid1(VALU_DEP_2)
	v_lshlrev_b64 v[1:2], 3, v[3:4]
	v_add3_u32 v4, v5, v10, 0x1000
	s_delay_alu instid0(VALU_DEP_2) | instskip(NEXT) | instid1(VALU_DEP_3)
	v_add_co_u32 v1, vcc_lo, s8, v1
	v_add_co_ci_u32_e32 v2, vcc_lo, s9, v2, vcc_lo
; %bb.29:
	s_or_b32 exec_lo, exec_lo, s1
	s_delay_alu instid0(SALU_CYCLE_1) | instskip(SKIP_1) | instid1(SALU_CYCLE_1)
	s_and_not1_b32 s1, s5, exec_lo
	s_and_b32 s5, s13, exec_lo
	s_or_b32 s5, s1, s5
.LBB3_30:
	s_and_not1_saveexec_b32 s0, s0
; %bb.31:
	v_lshlrev_b32_e32 v1, 3, v7
	v_mul_u32_u24_e32 v3, 6, v0
	s_or_b32 s5, s5, exec_lo
	s_delay_alu instid0(VALU_DEP_2) | instskip(NEXT) | instid1(VALU_DEP_1)
	v_add_co_u32 v1, s1, s2, v1
	v_add_co_ci_u32_e64 v2, null, s4, 0, s1
	s_delay_alu instid0(VALU_DEP_3)
	v_add3_u32 v4, v5, v3, 0x1000
; %bb.32:
	s_or_b32 exec_lo, exec_lo, s0
.LBB3_33:
	s_and_saveexec_b32 s0, s5
	s_cbranch_execz .LBB3_35
; %bb.34:
	global_load_b64 v[1:2], v[1:2], off
	s_waitcnt vmcnt(0)
	ds_store_b64 v4, v[1:2]
.LBB3_35:
	s_or_b32 exec_lo, exec_lo, s0
	v_add_nc_u32_e32 v1, s12, v5
	s_and_not1_b32 vcc_lo, exec_lo, s23
	s_waitcnt lgkmcnt(0)
	s_barrier
	buffer_gl0_inv
	s_cbranch_vccnz .LBB3_37
; %bb.36:
	v_lshlrev_b32_e32 v2, 3, v9
	s_mov_b32 s0, -1
	ds_load_b64 v[3:4], v2
	v_mov_b32_e32 v2, 0
	s_delay_alu instid0(VALU_DEP_1) | instskip(NEXT) | instid1(VALU_DEP_1)
	v_lshlrev_b64 v[10:11], 3, v[1:2]
	v_add_co_u32 v10, vcc_lo, s10, v10
	s_delay_alu instid0(VALU_DEP_2)
	v_add_co_ci_u32_e32 v11, vcc_lo, s11, v11, vcc_lo
	s_waitcnt lgkmcnt(0)
	global_store_b64 v[10:11], v[3:4], off
	s_cbranch_execz .LBB3_38
	s_branch .LBB3_43
.LBB3_37:
	s_mov_b32 s0, 0
.LBB3_38:
	s_mov_b32 s1, exec_lo
	v_cmpx_gt_u32_e64 s3, v5
	s_cbranch_execz .LBB3_40
; %bb.39:
	v_lshlrev_b32_e32 v2, 3, v9
	ds_load_b64 v[3:4], v2
	v_mov_b32_e32 v2, 0
	s_delay_alu instid0(VALU_DEP_1) | instskip(NEXT) | instid1(VALU_DEP_1)
	v_lshlrev_b64 v[9:10], 3, v[1:2]
	v_add_co_u32 v9, vcc_lo, s10, v9
	s_delay_alu instid0(VALU_DEP_2)
	v_add_co_ci_u32_e32 v10, vcc_lo, s11, v10, vcc_lo
	s_waitcnt lgkmcnt(0)
	global_store_b64 v[9:10], v[3:4], off
.LBB3_40:
	s_or_b32 exec_lo, exec_lo, s1
	v_or_b32_e32 v2, 1, v5
	s_mov_b32 s1, exec_lo
	s_delay_alu instid0(VALU_DEP_1)
	v_cmpx_gt_u32_e64 s3, v2
; %bb.41:
	v_mov_b32_e32 v2, 0
	s_or_b32 s0, s0, exec_lo
; %bb.42:
	s_or_b32 exec_lo, exec_lo, s1
.LBB3_43:
	s_and_saveexec_b32 s1, s0
	s_cbranch_execz .LBB3_45
; %bb.44:
	v_lshlrev_b32_e32 v3, 3, v8
	v_lshlrev_b64 v[1:2], 3, v[1:2]
	ds_load_b64 v[3:4], v3
	v_add_co_u32 v1, vcc_lo, s10, v1
	v_add_co_ci_u32_e32 v2, vcc_lo, s11, v2, vcc_lo
	s_waitcnt lgkmcnt(0)
	global_store_b64 v[1:2], v[3:4], off offset:8
.LBB3_45:
	s_or_b32 exec_lo, exec_lo, s1
	v_lshrrev_b32_e32 v1, 3, v0
	v_lshrrev_b32_e32 v2, 4, v0
	v_lshrrev_b32_e32 v3, 4, v7
	s_mov_b32 s13, 0
	s_waitcnt_vscnt null, 0x0
	v_and_b32_e32 v1, 60, v1
	s_lshl_b64 s[0:1], s[12:13], 1
	v_and_b32_e32 v2, 28, v2
	v_and_b32_e32 v4, 60, v3
	s_add_u32 s0, s6, s0
	v_lshl_add_u32 v1, v5, 1, v1
	s_barrier
	buffer_gl0_inv
	s_barrier
	buffer_gl0_inv
	s_addc_u32 s1, s7, s1
	ds_store_b32 v1, v6
	v_add_co_u32 v1, s0, s0, v5
	v_add_nc_u32_e32 v3, v5, v2
	v_add_nc_u32_e32 v6, v5, v4
	v_add_co_ci_u32_e64 v2, null, s1, 0, s0
	s_and_b32 vcc_lo, exec_lo, s23
	s_waitcnt lgkmcnt(0)
	s_cbranch_vccz .LBB3_47
; %bb.46:
	s_barrier
	buffer_gl0_inv
	ds_load_u16 v5, v3
	ds_load_u16 v4, v6 offset:1024
	s_mov_b32 s13, -1
	s_waitcnt lgkmcnt(1)
	global_store_b16 v[1:2], v5, off
	s_cbranch_execz .LBB3_48
	s_branch .LBB3_51
.LBB3_47:
                                        ; implicit-def: $vgpr4
.LBB3_48:
	s_waitcnt lgkmcnt(0)
	s_waitcnt_vscnt null, 0x0
	s_barrier
	buffer_gl0_inv
	ds_load_u16 v4, v6 offset:1024
	s_sub_i32 s0, s16, s12
	s_mov_b32 s1, exec_lo
	v_cmpx_gt_u32_e64 s0, v0
	s_cbranch_execz .LBB3_50
; %bb.49:
	ds_load_u16 v0, v3
	s_waitcnt lgkmcnt(0)
	global_store_b16 v[1:2], v0, off
.LBB3_50:
	s_or_b32 exec_lo, exec_lo, s1
	v_cmp_gt_u32_e64 s13, s0, v7
.LBB3_51:
	s_delay_alu instid0(VALU_DEP_1)
	s_and_saveexec_b32 s0, s13
	s_cbranch_execz .LBB3_53
; %bb.52:
	s_waitcnt lgkmcnt(0)
	global_store_b16 v[1:2], v4, off offset:1024
.LBB3_53:
	s_nop 0
	s_sendmsg sendmsg(MSG_DEALLOC_VGPRS)
	s_endpgm
.LBB3_54:
	v_subrev_nc_u32_e32 v3, s17, v0
	s_mov_b32 s13, exec_lo
                                        ; implicit-def: $vgpr1_vgpr2
	s_delay_alu instid0(VALU_DEP_1)
	v_cmpx_gt_u32_e64 s24, v3
	s_xor_b32 s13, exec_lo, s13
; %bb.55:
	v_mov_b32_e32 v4, 0
	s_mov_b32 s1, exec_lo
	s_delay_alu instid0(VALU_DEP_1) | instskip(NEXT) | instid1(VALU_DEP_1)
	v_lshlrev_b64 v[1:2], 3, v[3:4]
	v_add_co_u32 v1, vcc_lo, s8, v1
	s_delay_alu instid0(VALU_DEP_2)
	v_add_co_ci_u32_e32 v2, vcc_lo, s9, v2, vcc_lo
; %bb.56:
	s_or_b32 exec_lo, exec_lo, s13
	s_delay_alu instid0(SALU_CYCLE_1)
	s_and_b32 s1, s1, exec_lo
	s_and_not1_saveexec_b32 s0, s0
	s_cbranch_execz .LBB3_24
.LBB3_57:
	v_lshlrev_b32_e32 v1, 3, v0
	s_or_b32 s1, s1, exec_lo
	s_delay_alu instid0(VALU_DEP_1) | instskip(NEXT) | instid1(VALU_DEP_1)
	v_add_co_u32 v1, s13, s2, v1
	v_add_co_ci_u32_e64 v2, null, s4, 0, s13
	s_or_b32 exec_lo, exec_lo, s0
	s_and_saveexec_b32 s0, s1
	s_cbranch_execnz .LBB3_25
	s_branch .LBB3_26
	.section	.rodata,"a",@progbits
	.p2align	6, 0x0
	.amdhsa_kernel _ZN7rocprim17ROCPRIM_304000_NS6detail35device_block_merge_mergepath_kernelINS1_37wrapped_merge_sort_block_merge_configINS0_14default_configEtN2at4cuda3cub6detail10OpaqueTypeILi8EEEEEPtSC_PSA_SD_jNS1_19radix_merge_compareILb1ELb0EtNS0_19identity_decomposerEEEEEvT0_T1_T2_T3_T4_SL_jT5_PKSL_NS1_7vsmem_tE
		.amdhsa_group_segment_fixed_size 8208
		.amdhsa_private_segment_fixed_size 0
		.amdhsa_kernarg_size 320
		.amdhsa_user_sgpr_count 13
		.amdhsa_user_sgpr_dispatch_ptr 0
		.amdhsa_user_sgpr_queue_ptr 0
		.amdhsa_user_sgpr_kernarg_segment_ptr 1
		.amdhsa_user_sgpr_dispatch_id 0
		.amdhsa_user_sgpr_private_segment_size 0
		.amdhsa_wavefront_size32 1
		.amdhsa_uses_dynamic_stack 0
		.amdhsa_enable_private_segment 0
		.amdhsa_system_sgpr_workgroup_id_x 1
		.amdhsa_system_sgpr_workgroup_id_y 1
		.amdhsa_system_sgpr_workgroup_id_z 1
		.amdhsa_system_sgpr_workgroup_info 0
		.amdhsa_system_vgpr_workitem_id 0
		.amdhsa_next_free_vgpr 15
		.amdhsa_next_free_sgpr 30
		.amdhsa_reserve_vcc 1
		.amdhsa_float_round_mode_32 0
		.amdhsa_float_round_mode_16_64 0
		.amdhsa_float_denorm_mode_32 3
		.amdhsa_float_denorm_mode_16_64 3
		.amdhsa_dx10_clamp 1
		.amdhsa_ieee_mode 1
		.amdhsa_fp16_overflow 0
		.amdhsa_workgroup_processor_mode 1
		.amdhsa_memory_ordered 1
		.amdhsa_forward_progress 0
		.amdhsa_shared_vgpr_count 0
		.amdhsa_exception_fp_ieee_invalid_op 0
		.amdhsa_exception_fp_denorm_src 0
		.amdhsa_exception_fp_ieee_div_zero 0
		.amdhsa_exception_fp_ieee_overflow 0
		.amdhsa_exception_fp_ieee_underflow 0
		.amdhsa_exception_fp_ieee_inexact 0
		.amdhsa_exception_int_div_zero 0
	.end_amdhsa_kernel
	.section	.text._ZN7rocprim17ROCPRIM_304000_NS6detail35device_block_merge_mergepath_kernelINS1_37wrapped_merge_sort_block_merge_configINS0_14default_configEtN2at4cuda3cub6detail10OpaqueTypeILi8EEEEEPtSC_PSA_SD_jNS1_19radix_merge_compareILb1ELb0EtNS0_19identity_decomposerEEEEEvT0_T1_T2_T3_T4_SL_jT5_PKSL_NS1_7vsmem_tE,"axG",@progbits,_ZN7rocprim17ROCPRIM_304000_NS6detail35device_block_merge_mergepath_kernelINS1_37wrapped_merge_sort_block_merge_configINS0_14default_configEtN2at4cuda3cub6detail10OpaqueTypeILi8EEEEEPtSC_PSA_SD_jNS1_19radix_merge_compareILb1ELb0EtNS0_19identity_decomposerEEEEEvT0_T1_T2_T3_T4_SL_jT5_PKSL_NS1_7vsmem_tE,comdat
.Lfunc_end3:
	.size	_ZN7rocprim17ROCPRIM_304000_NS6detail35device_block_merge_mergepath_kernelINS1_37wrapped_merge_sort_block_merge_configINS0_14default_configEtN2at4cuda3cub6detail10OpaqueTypeILi8EEEEEPtSC_PSA_SD_jNS1_19radix_merge_compareILb1ELb0EtNS0_19identity_decomposerEEEEEvT0_T1_T2_T3_T4_SL_jT5_PKSL_NS1_7vsmem_tE, .Lfunc_end3-_ZN7rocprim17ROCPRIM_304000_NS6detail35device_block_merge_mergepath_kernelINS1_37wrapped_merge_sort_block_merge_configINS0_14default_configEtN2at4cuda3cub6detail10OpaqueTypeILi8EEEEEPtSC_PSA_SD_jNS1_19radix_merge_compareILb1ELb0EtNS0_19identity_decomposerEEEEEvT0_T1_T2_T3_T4_SL_jT5_PKSL_NS1_7vsmem_tE
                                        ; -- End function
	.section	.AMDGPU.csdata,"",@progbits
; Kernel info:
; codeLenInByte = 2428
; NumSgprs: 32
; NumVgprs: 15
; ScratchSize: 0
; MemoryBound: 1
; FloatMode: 240
; IeeeMode: 1
; LDSByteSize: 8208 bytes/workgroup (compile time only)
; SGPRBlocks: 3
; VGPRBlocks: 1
; NumSGPRsForWavesPerEU: 32
; NumVGPRsForWavesPerEU: 15
; Occupancy: 16
; WaveLimiterHint : 1
; COMPUTE_PGM_RSRC2:SCRATCH_EN: 0
; COMPUTE_PGM_RSRC2:USER_SGPR: 13
; COMPUTE_PGM_RSRC2:TRAP_HANDLER: 0
; COMPUTE_PGM_RSRC2:TGID_X_EN: 1
; COMPUTE_PGM_RSRC2:TGID_Y_EN: 1
; COMPUTE_PGM_RSRC2:TGID_Z_EN: 1
; COMPUTE_PGM_RSRC2:TIDIG_COMP_CNT: 0
	.section	.text._ZN7rocprim17ROCPRIM_304000_NS6detail33device_block_merge_oddeven_kernelINS1_37wrapped_merge_sort_block_merge_configINS0_14default_configEtN2at4cuda3cub6detail10OpaqueTypeILi8EEEEEPtSC_PSA_SD_jNS1_19radix_merge_compareILb1ELb0EtNS0_19identity_decomposerEEEEEvT0_T1_T2_T3_T4_SL_T5_,"axG",@progbits,_ZN7rocprim17ROCPRIM_304000_NS6detail33device_block_merge_oddeven_kernelINS1_37wrapped_merge_sort_block_merge_configINS0_14default_configEtN2at4cuda3cub6detail10OpaqueTypeILi8EEEEEPtSC_PSA_SD_jNS1_19radix_merge_compareILb1ELb0EtNS0_19identity_decomposerEEEEEvT0_T1_T2_T3_T4_SL_T5_,comdat
	.protected	_ZN7rocprim17ROCPRIM_304000_NS6detail33device_block_merge_oddeven_kernelINS1_37wrapped_merge_sort_block_merge_configINS0_14default_configEtN2at4cuda3cub6detail10OpaqueTypeILi8EEEEEPtSC_PSA_SD_jNS1_19radix_merge_compareILb1ELb0EtNS0_19identity_decomposerEEEEEvT0_T1_T2_T3_T4_SL_T5_ ; -- Begin function _ZN7rocprim17ROCPRIM_304000_NS6detail33device_block_merge_oddeven_kernelINS1_37wrapped_merge_sort_block_merge_configINS0_14default_configEtN2at4cuda3cub6detail10OpaqueTypeILi8EEEEEPtSC_PSA_SD_jNS1_19radix_merge_compareILb1ELb0EtNS0_19identity_decomposerEEEEEvT0_T1_T2_T3_T4_SL_T5_
	.globl	_ZN7rocprim17ROCPRIM_304000_NS6detail33device_block_merge_oddeven_kernelINS1_37wrapped_merge_sort_block_merge_configINS0_14default_configEtN2at4cuda3cub6detail10OpaqueTypeILi8EEEEEPtSC_PSA_SD_jNS1_19radix_merge_compareILb1ELb0EtNS0_19identity_decomposerEEEEEvT0_T1_T2_T3_T4_SL_T5_
	.p2align	8
	.type	_ZN7rocprim17ROCPRIM_304000_NS6detail33device_block_merge_oddeven_kernelINS1_37wrapped_merge_sort_block_merge_configINS0_14default_configEtN2at4cuda3cub6detail10OpaqueTypeILi8EEEEEPtSC_PSA_SD_jNS1_19radix_merge_compareILb1ELb0EtNS0_19identity_decomposerEEEEEvT0_T1_T2_T3_T4_SL_T5_,@function
_ZN7rocprim17ROCPRIM_304000_NS6detail33device_block_merge_oddeven_kernelINS1_37wrapped_merge_sort_block_merge_configINS0_14default_configEtN2at4cuda3cub6detail10OpaqueTypeILi8EEEEEPtSC_PSA_SD_jNS1_19radix_merge_compareILb1ELb0EtNS0_19identity_decomposerEEEEEvT0_T1_T2_T3_T4_SL_T5_: ; @_ZN7rocprim17ROCPRIM_304000_NS6detail33device_block_merge_oddeven_kernelINS1_37wrapped_merge_sort_block_merge_configINS0_14default_configEtN2at4cuda3cub6detail10OpaqueTypeILi8EEEEEPtSC_PSA_SD_jNS1_19radix_merge_compareILb1ELb0EtNS0_19identity_decomposerEEEEEvT0_T1_T2_T3_T4_SL_T5_
; %bb.0:
	s_load_b64 s[16:17], s[0:1], 0x20
	s_waitcnt lgkmcnt(0)
	s_lshr_b32 s2, s16, 8
	s_delay_alu instid0(SALU_CYCLE_1) | instskip(SKIP_4) | instid1(SALU_CYCLE_1)
	s_cmp_lg_u32 s15, s2
	s_cselect_b32 s4, -1, 0
	s_cmp_eq_u32 s15, s2
	s_cselect_b32 s3, -1, 0
	s_lshl_b32 s12, s15, 8
	s_sub_i32 s2, s16, s12
	s_delay_alu instid0(SALU_CYCLE_1) | instskip(NEXT) | instid1(VALU_DEP_1)
	v_cmp_gt_u32_e64 s2, s2, v0
	s_or_b32 s4, s4, s2
	s_delay_alu instid0(SALU_CYCLE_1)
	s_and_saveexec_b32 s5, s4
	s_cbranch_execz .LBB4_26
; %bb.1:
	s_load_b256 s[4:11], s[0:1], 0x0
	s_mov_b32 s13, 0
	v_lshlrev_b32_e32 v1, 3, v0
	s_lshl_b64 s[0:1], s[12:13], 1
	v_lshlrev_b32_e32 v3, 1, v0
	v_add_nc_u32_e32 v5, s12, v0
	s_waitcnt lgkmcnt(0)
	s_add_u32 s0, s4, s0
	s_addc_u32 s1, s5, s1
	s_lshl_b64 s[18:19], s[12:13], 3
	s_delay_alu instid0(SALU_CYCLE_1) | instskip(SKIP_4) | instid1(SALU_CYCLE_1)
	s_add_u32 s8, s8, s18
	s_addc_u32 s9, s9, s19
	global_load_b64 v[1:2], v1, s[8:9]
	global_load_u16 v7, v3, s[0:1]
	s_lshr_b32 s0, s17, 8
	s_sub_i32 s1, 0, s0
	s_delay_alu instid0(SALU_CYCLE_1) | instskip(NEXT) | instid1(SALU_CYCLE_1)
	s_and_b32 s1, s15, s1
	s_and_b32 s0, s1, s0
	s_lshl_b32 s9, s1, 8
	s_sub_i32 s1, 0, s17
	s_cmp_eq_u32 s0, 0
	s_cselect_b32 s0, -1, 0
	s_delay_alu instid0(SALU_CYCLE_1) | instskip(SKIP_1) | instid1(SALU_CYCLE_1)
	s_and_b32 s8, s0, exec_lo
	s_cselect_b32 s1, s17, s1
	s_add_i32 s1, s1, s9
	s_delay_alu instid0(SALU_CYCLE_1)
	s_cmp_lt_u32 s1, s16
	s_cbranch_scc1 .LBB4_6
; %bb.2:
	s_and_b32 vcc_lo, exec_lo, s3
	s_cbranch_vccz .LBB4_7
; %bb.3:
	s_mov_b32 s8, 0
	s_mov_b32 s12, exec_lo
                                        ; implicit-def: $vgpr3_vgpr4
	v_cmpx_gt_u32_e64 s16, v5
	s_cbranch_execz .LBB4_5
; %bb.4:
	v_mov_b32_e32 v6, 0
	s_mov_b32 s13, exec_lo
	s_delay_alu instid0(VALU_DEP_1) | instskip(SKIP_1) | instid1(VALU_DEP_2)
	v_lshlrev_b64 v[3:4], 1, v[5:6]
	v_lshlrev_b64 v[8:9], 3, v[5:6]
	v_add_co_u32 v10, vcc_lo, s6, v3
	s_delay_alu instid0(VALU_DEP_3) | instskip(NEXT) | instid1(VALU_DEP_3)
	v_add_co_ci_u32_e32 v11, vcc_lo, s7, v4, vcc_lo
	v_add_co_u32 v3, vcc_lo, s10, v8
	s_delay_alu instid0(VALU_DEP_4)
	v_add_co_ci_u32_e32 v4, vcc_lo, s11, v9, vcc_lo
	s_waitcnt vmcnt(0)
	global_store_b16 v[10:11], v7, off
.LBB4_5:
	s_or_b32 exec_lo, exec_lo, s12
	s_delay_alu instid0(SALU_CYCLE_1)
	s_and_b32 vcc_lo, exec_lo, s8
	s_cbranch_vccnz .LBB4_8
	s_branch .LBB4_9
.LBB4_6:
                                        ; implicit-def: $vgpr3_vgpr4
	s_cbranch_execnz .LBB4_10
	s_branch .LBB4_24
.LBB4_7:
                                        ; implicit-def: $vgpr3_vgpr4
	s_cbranch_execz .LBB4_9
.LBB4_8:
	v_mov_b32_e32 v6, 0
	s_or_b32 s13, s13, exec_lo
	s_delay_alu instid0(VALU_DEP_1) | instskip(SKIP_1) | instid1(VALU_DEP_2)
	v_lshlrev_b64 v[3:4], 1, v[5:6]
	v_lshlrev_b64 v[8:9], 3, v[5:6]
	v_add_co_u32 v10, vcc_lo, s6, v3
	s_delay_alu instid0(VALU_DEP_3) | instskip(NEXT) | instid1(VALU_DEP_3)
	v_add_co_ci_u32_e32 v11, vcc_lo, s7, v4, vcc_lo
	v_add_co_u32 v3, vcc_lo, s10, v8
	s_delay_alu instid0(VALU_DEP_4)
	v_add_co_ci_u32_e32 v4, vcc_lo, s11, v9, vcc_lo
	s_waitcnt vmcnt(0)
	global_store_b16 v[10:11], v7, off
.LBB4_9:
	s_branch .LBB4_24
.LBB4_10:
	s_min_u32 s8, s1, s16
	s_and_b32 vcc_lo, exec_lo, s3
	s_add_i32 s12, s9, s8
	s_min_u32 s9, s9, s8
	v_subrev_nc_u32_e32 v0, s12, v5
	s_add_i32 s12, s8, s17
	s_delay_alu instid0(SALU_CYCLE_1) | instskip(NEXT) | instid1(VALU_DEP_1)
	s_min_u32 s3, s12, s16
	v_add_nc_u32_e32 v0, s9, v0
	s_cbranch_vccz .LBB4_18
; %bb.11:
                                        ; implicit-def: $vgpr3_vgpr4
	s_and_saveexec_b32 s9, s2
	s_cbranch_execz .LBB4_17
; %bb.12:
	v_mov_b32_e32 v3, s8
	s_cmp_ge_u32 s1, s3
	s_cbranch_scc1 .LBB4_16
; %bb.13:
	v_dual_mov_b32 v4, s3 :: v_dual_mov_b32 v3, s8
	s_mov_b32 s2, 0
	.p2align	6
.LBB4_14:                               ; =>This Inner Loop Header: Depth=1
	s_delay_alu instid0(VALU_DEP_1) | instskip(NEXT) | instid1(VALU_DEP_1)
	v_add_nc_u32_e32 v5, v3, v4
	v_and_b32_e32 v6, -2, v5
	v_lshrrev_b32_e32 v5, 1, v5
	global_load_u16 v6, v6, s[4:5]
	s_waitcnt vmcnt(0)
	v_cmp_gt_u16_e32 vcc_lo, v6, v7
	v_cndmask_b32_e64 v8, 0, 1, vcc_lo
	v_cmp_le_u16_e32 vcc_lo, v7, v6
	v_cndmask_b32_e64 v6, 0, 1, vcc_lo
	s_delay_alu instid0(VALU_DEP_1) | instskip(SKIP_1) | instid1(VALU_DEP_2)
	v_cndmask_b32_e64 v6, v6, v8, s0
	v_add_nc_u32_e32 v8, 1, v5
	v_and_b32_e32 v6, 1, v6
	s_delay_alu instid0(VALU_DEP_1) | instskip(NEXT) | instid1(VALU_DEP_3)
	v_cmp_eq_u32_e32 vcc_lo, 1, v6
	v_cndmask_b32_e32 v3, v3, v8, vcc_lo
	v_cndmask_b32_e32 v4, v5, v4, vcc_lo
	s_delay_alu instid0(VALU_DEP_1) | instskip(SKIP_1) | instid1(SALU_CYCLE_1)
	v_cmp_ge_u32_e32 vcc_lo, v3, v4
	s_or_b32 s2, vcc_lo, s2
	s_and_not1_b32 exec_lo, exec_lo, s2
	s_cbranch_execnz .LBB4_14
; %bb.15:
	s_or_b32 exec_lo, exec_lo, s2
.LBB4_16:
	s_delay_alu instid0(VALU_DEP_1) | instskip(SKIP_1) | instid1(VALU_DEP_1)
	v_dual_mov_b32 v4, 0 :: v_dual_add_nc_u32 v3, v3, v0
	s_or_b32 s13, s13, exec_lo
	v_lshlrev_b64 v[5:6], 1, v[3:4]
	v_lshlrev_b64 v[3:4], 3, v[3:4]
	s_delay_alu instid0(VALU_DEP_2) | instskip(NEXT) | instid1(VALU_DEP_3)
	v_add_co_u32 v5, vcc_lo, s6, v5
	v_add_co_ci_u32_e32 v6, vcc_lo, s7, v6, vcc_lo
	s_delay_alu instid0(VALU_DEP_3) | instskip(NEXT) | instid1(VALU_DEP_4)
	v_add_co_u32 v3, vcc_lo, s10, v3
	v_add_co_ci_u32_e32 v4, vcc_lo, s11, v4, vcc_lo
	s_waitcnt vmcnt(0)
	global_store_b16 v[5:6], v7, off
.LBB4_17:
	s_or_b32 exec_lo, exec_lo, s9
	s_branch .LBB4_24
.LBB4_18:
                                        ; implicit-def: $vgpr3_vgpr4
	s_cbranch_execz .LBB4_24
; %bb.19:
	v_mov_b32_e32 v3, s8
	s_cmp_ge_u32 s1, s3
	s_cbranch_scc1 .LBB4_23
; %bb.20:
	v_dual_mov_b32 v4, s3 :: v_dual_mov_b32 v3, s8
	s_mov_b32 s1, 0
	.p2align	6
.LBB4_21:                               ; =>This Inner Loop Header: Depth=1
	s_delay_alu instid0(VALU_DEP_1) | instskip(NEXT) | instid1(VALU_DEP_1)
	v_add_nc_u32_e32 v5, v3, v4
	v_and_b32_e32 v6, -2, v5
	v_lshrrev_b32_e32 v5, 1, v5
	global_load_u16 v6, v6, s[4:5]
	s_waitcnt vmcnt(0)
	v_cmp_gt_u16_e32 vcc_lo, v6, v7
	v_cndmask_b32_e64 v8, 0, 1, vcc_lo
	v_cmp_le_u16_e32 vcc_lo, v7, v6
	v_cndmask_b32_e64 v6, 0, 1, vcc_lo
	s_delay_alu instid0(VALU_DEP_1) | instskip(SKIP_1) | instid1(VALU_DEP_2)
	v_cndmask_b32_e64 v6, v6, v8, s0
	v_add_nc_u32_e32 v8, 1, v5
	v_and_b32_e32 v6, 1, v6
	s_delay_alu instid0(VALU_DEP_1) | instskip(NEXT) | instid1(VALU_DEP_3)
	v_cmp_eq_u32_e32 vcc_lo, 1, v6
	v_cndmask_b32_e32 v3, v3, v8, vcc_lo
	v_cndmask_b32_e32 v4, v5, v4, vcc_lo
	s_delay_alu instid0(VALU_DEP_1) | instskip(SKIP_1) | instid1(SALU_CYCLE_1)
	v_cmp_ge_u32_e32 vcc_lo, v3, v4
	s_or_b32 s1, vcc_lo, s1
	s_and_not1_b32 exec_lo, exec_lo, s1
	s_cbranch_execnz .LBB4_21
; %bb.22:
	s_or_b32 exec_lo, exec_lo, s1
.LBB4_23:
	s_delay_alu instid0(VALU_DEP_1) | instskip(SKIP_1) | instid1(VALU_DEP_1)
	v_dual_mov_b32 v4, 0 :: v_dual_add_nc_u32 v3, v3, v0
	s_mov_b32 s13, -1
	v_lshlrev_b64 v[5:6], 1, v[3:4]
	v_lshlrev_b64 v[3:4], 3, v[3:4]
	s_delay_alu instid0(VALU_DEP_2) | instskip(NEXT) | instid1(VALU_DEP_3)
	v_add_co_u32 v5, vcc_lo, s6, v5
	v_add_co_ci_u32_e32 v6, vcc_lo, s7, v6, vcc_lo
	s_delay_alu instid0(VALU_DEP_3) | instskip(NEXT) | instid1(VALU_DEP_4)
	v_add_co_u32 v3, vcc_lo, s10, v3
	v_add_co_ci_u32_e32 v4, vcc_lo, s11, v4, vcc_lo
	s_waitcnt vmcnt(0)
	global_store_b16 v[5:6], v7, off
.LBB4_24:
	s_and_b32 exec_lo, exec_lo, s13
	s_cbranch_execz .LBB4_26
; %bb.25:
	s_waitcnt vmcnt(1)
	global_store_b64 v[3:4], v[1:2], off
.LBB4_26:
	s_nop 0
	s_sendmsg sendmsg(MSG_DEALLOC_VGPRS)
	s_endpgm
	.section	.rodata,"a",@progbits
	.p2align	6, 0x0
	.amdhsa_kernel _ZN7rocprim17ROCPRIM_304000_NS6detail33device_block_merge_oddeven_kernelINS1_37wrapped_merge_sort_block_merge_configINS0_14default_configEtN2at4cuda3cub6detail10OpaqueTypeILi8EEEEEPtSC_PSA_SD_jNS1_19radix_merge_compareILb1ELb0EtNS0_19identity_decomposerEEEEEvT0_T1_T2_T3_T4_SL_T5_
		.amdhsa_group_segment_fixed_size 0
		.amdhsa_private_segment_fixed_size 0
		.amdhsa_kernarg_size 44
		.amdhsa_user_sgpr_count 15
		.amdhsa_user_sgpr_dispatch_ptr 0
		.amdhsa_user_sgpr_queue_ptr 0
		.amdhsa_user_sgpr_kernarg_segment_ptr 1
		.amdhsa_user_sgpr_dispatch_id 0
		.amdhsa_user_sgpr_private_segment_size 0
		.amdhsa_wavefront_size32 1
		.amdhsa_uses_dynamic_stack 0
		.amdhsa_enable_private_segment 0
		.amdhsa_system_sgpr_workgroup_id_x 1
		.amdhsa_system_sgpr_workgroup_id_y 0
		.amdhsa_system_sgpr_workgroup_id_z 0
		.amdhsa_system_sgpr_workgroup_info 0
		.amdhsa_system_vgpr_workitem_id 0
		.amdhsa_next_free_vgpr 12
		.amdhsa_next_free_sgpr 20
		.amdhsa_reserve_vcc 1
		.amdhsa_float_round_mode_32 0
		.amdhsa_float_round_mode_16_64 0
		.amdhsa_float_denorm_mode_32 3
		.amdhsa_float_denorm_mode_16_64 3
		.amdhsa_dx10_clamp 1
		.amdhsa_ieee_mode 1
		.amdhsa_fp16_overflow 0
		.amdhsa_workgroup_processor_mode 1
		.amdhsa_memory_ordered 1
		.amdhsa_forward_progress 0
		.amdhsa_shared_vgpr_count 0
		.amdhsa_exception_fp_ieee_invalid_op 0
		.amdhsa_exception_fp_denorm_src 0
		.amdhsa_exception_fp_ieee_div_zero 0
		.amdhsa_exception_fp_ieee_overflow 0
		.amdhsa_exception_fp_ieee_underflow 0
		.amdhsa_exception_fp_ieee_inexact 0
		.amdhsa_exception_int_div_zero 0
	.end_amdhsa_kernel
	.section	.text._ZN7rocprim17ROCPRIM_304000_NS6detail33device_block_merge_oddeven_kernelINS1_37wrapped_merge_sort_block_merge_configINS0_14default_configEtN2at4cuda3cub6detail10OpaqueTypeILi8EEEEEPtSC_PSA_SD_jNS1_19radix_merge_compareILb1ELb0EtNS0_19identity_decomposerEEEEEvT0_T1_T2_T3_T4_SL_T5_,"axG",@progbits,_ZN7rocprim17ROCPRIM_304000_NS6detail33device_block_merge_oddeven_kernelINS1_37wrapped_merge_sort_block_merge_configINS0_14default_configEtN2at4cuda3cub6detail10OpaqueTypeILi8EEEEEPtSC_PSA_SD_jNS1_19radix_merge_compareILb1ELb0EtNS0_19identity_decomposerEEEEEvT0_T1_T2_T3_T4_SL_T5_,comdat
.Lfunc_end4:
	.size	_ZN7rocprim17ROCPRIM_304000_NS6detail33device_block_merge_oddeven_kernelINS1_37wrapped_merge_sort_block_merge_configINS0_14default_configEtN2at4cuda3cub6detail10OpaqueTypeILi8EEEEEPtSC_PSA_SD_jNS1_19radix_merge_compareILb1ELb0EtNS0_19identity_decomposerEEEEEvT0_T1_T2_T3_T4_SL_T5_, .Lfunc_end4-_ZN7rocprim17ROCPRIM_304000_NS6detail33device_block_merge_oddeven_kernelINS1_37wrapped_merge_sort_block_merge_configINS0_14default_configEtN2at4cuda3cub6detail10OpaqueTypeILi8EEEEEPtSC_PSA_SD_jNS1_19radix_merge_compareILb1ELb0EtNS0_19identity_decomposerEEEEEvT0_T1_T2_T3_T4_SL_T5_
                                        ; -- End function
	.section	.AMDGPU.csdata,"",@progbits
; Kernel info:
; codeLenInByte = 932
; NumSgprs: 22
; NumVgprs: 12
; ScratchSize: 0
; MemoryBound: 0
; FloatMode: 240
; IeeeMode: 1
; LDSByteSize: 0 bytes/workgroup (compile time only)
; SGPRBlocks: 2
; VGPRBlocks: 1
; NumSGPRsForWavesPerEU: 22
; NumVGPRsForWavesPerEU: 12
; Occupancy: 16
; WaveLimiterHint : 0
; COMPUTE_PGM_RSRC2:SCRATCH_EN: 0
; COMPUTE_PGM_RSRC2:USER_SGPR: 15
; COMPUTE_PGM_RSRC2:TRAP_HANDLER: 0
; COMPUTE_PGM_RSRC2:TGID_X_EN: 1
; COMPUTE_PGM_RSRC2:TGID_Y_EN: 0
; COMPUTE_PGM_RSRC2:TGID_Z_EN: 0
; COMPUTE_PGM_RSRC2:TIDIG_COMP_CNT: 0
	.section	.text._ZN7rocprim17ROCPRIM_304000_NS6detail16transform_kernelINS1_24wrapped_transform_configINS0_14default_configEtEEtPtS6_NS0_8identityItEEEEvT1_mT2_T3_,"axG",@progbits,_ZN7rocprim17ROCPRIM_304000_NS6detail16transform_kernelINS1_24wrapped_transform_configINS0_14default_configEtEEtPtS6_NS0_8identityItEEEEvT1_mT2_T3_,comdat
	.protected	_ZN7rocprim17ROCPRIM_304000_NS6detail16transform_kernelINS1_24wrapped_transform_configINS0_14default_configEtEEtPtS6_NS0_8identityItEEEEvT1_mT2_T3_ ; -- Begin function _ZN7rocprim17ROCPRIM_304000_NS6detail16transform_kernelINS1_24wrapped_transform_configINS0_14default_configEtEEtPtS6_NS0_8identityItEEEEvT1_mT2_T3_
	.globl	_ZN7rocprim17ROCPRIM_304000_NS6detail16transform_kernelINS1_24wrapped_transform_configINS0_14default_configEtEEtPtS6_NS0_8identityItEEEEvT1_mT2_T3_
	.p2align	8
	.type	_ZN7rocprim17ROCPRIM_304000_NS6detail16transform_kernelINS1_24wrapped_transform_configINS0_14default_configEtEEtPtS6_NS0_8identityItEEEEvT1_mT2_T3_,@function
_ZN7rocprim17ROCPRIM_304000_NS6detail16transform_kernelINS1_24wrapped_transform_configINS0_14default_configEtEEtPtS6_NS0_8identityItEEEEvT1_mT2_T3_: ; @_ZN7rocprim17ROCPRIM_304000_NS6detail16transform_kernelINS1_24wrapped_transform_configINS0_14default_configEtEEtPtS6_NS0_8identityItEEEEvT1_mT2_T3_
; %bb.0:
	s_clause 0x2
	s_load_b32 s10, s[0:1], 0x20
	s_load_b128 s[4:7], s[0:1], 0x0
	s_load_b64 s[2:3], s[0:1], 0x10
	s_mov_b32 s1, 0
	s_lshl_b32 s0, s15, 11
	v_lshlrev_b32_e32 v3, 1, v0
	s_lshl_b64 s[8:9], s[0:1], 1
	s_waitcnt lgkmcnt(0)
	s_add_i32 s10, s10, -1
	s_add_u32 s4, s4, s8
	s_addc_u32 s5, s5, s9
	v_add_co_u32 v1, s4, s4, v3
	s_delay_alu instid0(VALU_DEP_1)
	v_add_co_ci_u32_e64 v2, null, s5, 0, s4
	s_cmp_lg_u32 s15, s10
	s_mov_b32 s4, -1
	s_cbranch_scc0 .LBB5_2
; %bb.1:
	s_clause 0x1
	global_load_u16 v5, v[1:2], off
	global_load_u16 v4, v[1:2], off offset:2048
	s_add_u32 s10, s2, s8
	s_addc_u32 s11, s3, s9
	s_mov_b32 s1, -1
	s_waitcnt vmcnt(1)
	global_store_b16 v3, v5, s[10:11]
	s_cbranch_execz .LBB5_3
	s_branch .LBB5_10
.LBB5_2:
                                        ; implicit-def: $vgpr4
	s_and_not1_b32 vcc_lo, exec_lo, s4
	s_cbranch_vccnz .LBB5_10
.LBB5_3:
	s_sub_i32 s0, s6, s0
                                        ; implicit-def: $vgpr5
	s_delay_alu instid0(SALU_CYCLE_1)
	v_cmp_gt_u32_e32 vcc_lo, s0, v0
	s_and_saveexec_b32 s4, vcc_lo
	s_cbranch_execz .LBB5_5
; %bb.4:
	global_load_d16_b16 v5, v[1:2], off
.LBB5_5:
	s_or_b32 exec_lo, exec_lo, s4
	v_or_b32_e32 v0, 0x400, v0
	s_delay_alu instid0(VALU_DEP_1) | instskip(NEXT) | instid1(VALU_DEP_1)
	v_cmp_gt_u32_e64 s0, s0, v0
	s_and_saveexec_b32 s4, s0
	s_cbranch_execnz .LBB5_13
; %bb.6:
	s_or_b32 exec_lo, exec_lo, s4
	s_and_saveexec_b32 s4, vcc_lo
	s_cbranch_execnz .LBB5_14
.LBB5_7:
	s_or_b32 exec_lo, exec_lo, s4
                                        ; implicit-def: $vgpr4
	s_and_saveexec_b32 s4, s0
	s_cbranch_execz .LBB5_9
.LBB5_8:
	s_waitcnt vmcnt(0)
	v_lshrrev_b32_e32 v4, 16, v5
	s_or_b32 s1, s1, exec_lo
.LBB5_9:
	s_or_b32 exec_lo, exec_lo, s4
.LBB5_10:
	s_and_saveexec_b32 s0, s1
	s_cbranch_execnz .LBB5_12
; %bb.11:
	s_nop 0
	s_sendmsg sendmsg(MSG_DEALLOC_VGPRS)
	s_endpgm
.LBB5_12:
	s_add_u32 s0, s2, s8
	s_addc_u32 s1, s3, s9
	s_waitcnt vmcnt(0)
	global_store_b16 v3, v4, s[0:1] offset:2048
	s_nop 0
	s_sendmsg sendmsg(MSG_DEALLOC_VGPRS)
	s_endpgm
.LBB5_13:
	global_load_d16_hi_b16 v5, v[1:2], off offset:2048
	s_or_b32 exec_lo, exec_lo, s4
	s_and_saveexec_b32 s4, vcc_lo
	s_cbranch_execz .LBB5_7
.LBB5_14:
	s_add_u32 s6, s2, s8
	s_addc_u32 s7, s3, s9
	s_waitcnt vmcnt(0)
	global_store_b16 v3, v5, s[6:7]
	s_or_b32 exec_lo, exec_lo, s4
                                        ; implicit-def: $vgpr4
	s_and_saveexec_b32 s4, s0
	s_cbranch_execnz .LBB5_8
	s_branch .LBB5_9
	.section	.rodata,"a",@progbits
	.p2align	6, 0x0
	.amdhsa_kernel _ZN7rocprim17ROCPRIM_304000_NS6detail16transform_kernelINS1_24wrapped_transform_configINS0_14default_configEtEEtPtS6_NS0_8identityItEEEEvT1_mT2_T3_
		.amdhsa_group_segment_fixed_size 0
		.amdhsa_private_segment_fixed_size 0
		.amdhsa_kernarg_size 288
		.amdhsa_user_sgpr_count 15
		.amdhsa_user_sgpr_dispatch_ptr 0
		.amdhsa_user_sgpr_queue_ptr 0
		.amdhsa_user_sgpr_kernarg_segment_ptr 1
		.amdhsa_user_sgpr_dispatch_id 0
		.amdhsa_user_sgpr_private_segment_size 0
		.amdhsa_wavefront_size32 1
		.amdhsa_uses_dynamic_stack 0
		.amdhsa_enable_private_segment 0
		.amdhsa_system_sgpr_workgroup_id_x 1
		.amdhsa_system_sgpr_workgroup_id_y 0
		.amdhsa_system_sgpr_workgroup_id_z 0
		.amdhsa_system_sgpr_workgroup_info 0
		.amdhsa_system_vgpr_workitem_id 0
		.amdhsa_next_free_vgpr 6
		.amdhsa_next_free_sgpr 16
		.amdhsa_reserve_vcc 1
		.amdhsa_float_round_mode_32 0
		.amdhsa_float_round_mode_16_64 0
		.amdhsa_float_denorm_mode_32 3
		.amdhsa_float_denorm_mode_16_64 3
		.amdhsa_dx10_clamp 1
		.amdhsa_ieee_mode 1
		.amdhsa_fp16_overflow 0
		.amdhsa_workgroup_processor_mode 1
		.amdhsa_memory_ordered 1
		.amdhsa_forward_progress 0
		.amdhsa_shared_vgpr_count 0
		.amdhsa_exception_fp_ieee_invalid_op 0
		.amdhsa_exception_fp_denorm_src 0
		.amdhsa_exception_fp_ieee_div_zero 0
		.amdhsa_exception_fp_ieee_overflow 0
		.amdhsa_exception_fp_ieee_underflow 0
		.amdhsa_exception_fp_ieee_inexact 0
		.amdhsa_exception_int_div_zero 0
	.end_amdhsa_kernel
	.section	.text._ZN7rocprim17ROCPRIM_304000_NS6detail16transform_kernelINS1_24wrapped_transform_configINS0_14default_configEtEEtPtS6_NS0_8identityItEEEEvT1_mT2_T3_,"axG",@progbits,_ZN7rocprim17ROCPRIM_304000_NS6detail16transform_kernelINS1_24wrapped_transform_configINS0_14default_configEtEEtPtS6_NS0_8identityItEEEEvT1_mT2_T3_,comdat
.Lfunc_end5:
	.size	_ZN7rocprim17ROCPRIM_304000_NS6detail16transform_kernelINS1_24wrapped_transform_configINS0_14default_configEtEEtPtS6_NS0_8identityItEEEEvT1_mT2_T3_, .Lfunc_end5-_ZN7rocprim17ROCPRIM_304000_NS6detail16transform_kernelINS1_24wrapped_transform_configINS0_14default_configEtEEtPtS6_NS0_8identityItEEEEvT1_mT2_T3_
                                        ; -- End function
	.section	.AMDGPU.csdata,"",@progbits
; Kernel info:
; codeLenInByte = 360
; NumSgprs: 18
; NumVgprs: 6
; ScratchSize: 0
; MemoryBound: 0
; FloatMode: 240
; IeeeMode: 1
; LDSByteSize: 0 bytes/workgroup (compile time only)
; SGPRBlocks: 2
; VGPRBlocks: 0
; NumSGPRsForWavesPerEU: 18
; NumVGPRsForWavesPerEU: 6
; Occupancy: 16
; WaveLimiterHint : 1
; COMPUTE_PGM_RSRC2:SCRATCH_EN: 0
; COMPUTE_PGM_RSRC2:USER_SGPR: 15
; COMPUTE_PGM_RSRC2:TRAP_HANDLER: 0
; COMPUTE_PGM_RSRC2:TGID_X_EN: 1
; COMPUTE_PGM_RSRC2:TGID_Y_EN: 0
; COMPUTE_PGM_RSRC2:TGID_Z_EN: 0
; COMPUTE_PGM_RSRC2:TIDIG_COMP_CNT: 0
	.section	.text._ZN7rocprim17ROCPRIM_304000_NS6detail16transform_kernelINS1_24wrapped_transform_configINS0_14default_configEN2at4cuda3cub6detail10OpaqueTypeILi8EEEEESA_PSA_SC_NS0_8identityISA_EEEEvT1_mT2_T3_,"axG",@progbits,_ZN7rocprim17ROCPRIM_304000_NS6detail16transform_kernelINS1_24wrapped_transform_configINS0_14default_configEN2at4cuda3cub6detail10OpaqueTypeILi8EEEEESA_PSA_SC_NS0_8identityISA_EEEEvT1_mT2_T3_,comdat
	.protected	_ZN7rocprim17ROCPRIM_304000_NS6detail16transform_kernelINS1_24wrapped_transform_configINS0_14default_configEN2at4cuda3cub6detail10OpaqueTypeILi8EEEEESA_PSA_SC_NS0_8identityISA_EEEEvT1_mT2_T3_ ; -- Begin function _ZN7rocprim17ROCPRIM_304000_NS6detail16transform_kernelINS1_24wrapped_transform_configINS0_14default_configEN2at4cuda3cub6detail10OpaqueTypeILi8EEEEESA_PSA_SC_NS0_8identityISA_EEEEvT1_mT2_T3_
	.globl	_ZN7rocprim17ROCPRIM_304000_NS6detail16transform_kernelINS1_24wrapped_transform_configINS0_14default_configEN2at4cuda3cub6detail10OpaqueTypeILi8EEEEESA_PSA_SC_NS0_8identityISA_EEEEvT1_mT2_T3_
	.p2align	8
	.type	_ZN7rocprim17ROCPRIM_304000_NS6detail16transform_kernelINS1_24wrapped_transform_configINS0_14default_configEN2at4cuda3cub6detail10OpaqueTypeILi8EEEEESA_PSA_SC_NS0_8identityISA_EEEEvT1_mT2_T3_,@function
_ZN7rocprim17ROCPRIM_304000_NS6detail16transform_kernelINS1_24wrapped_transform_configINS0_14default_configEN2at4cuda3cub6detail10OpaqueTypeILi8EEEEESA_PSA_SC_NS0_8identityISA_EEEEvT1_mT2_T3_: ; @_ZN7rocprim17ROCPRIM_304000_NS6detail16transform_kernelINS1_24wrapped_transform_configINS0_14default_configEN2at4cuda3cub6detail10OpaqueTypeILi8EEEEESA_PSA_SC_NS0_8identityISA_EEEEvT1_mT2_T3_
; %bb.0:
	s_clause 0x2
	s_load_b32 s3, s[0:1], 0x20
	s_load_b128 s[4:7], s[0:1], 0x0
	s_load_b64 s[0:1], s[0:1], 0x10
	v_lshlrev_b32_e32 v2, 3, v0
	s_lshl_b32 s2, s15, 9
	s_waitcnt lgkmcnt(0)
	s_add_i32 s7, s3, -1
	s_mov_b32 s3, 0
	s_cmp_lg_u32 s15, s7
	s_mov_b32 s7, -1
	s_cbranch_scc0 .LBB6_2
; %bb.1:
	s_lshl_b64 s[8:9], s[2:3], 3
	s_mov_b32 s7, s3
	s_add_u32 s10, s4, s8
	s_addc_u32 s11, s5, s9
	s_add_u32 s8, s0, s8
	global_load_b64 v[3:4], v2, s[10:11]
	s_addc_u32 s9, s1, s9
	s_waitcnt vmcnt(0)
	global_store_b64 v2, v[3:4], s[8:9]
.LBB6_2:
	s_and_not1_b32 vcc_lo, exec_lo, s7
	s_cbranch_vccnz .LBB6_7
; %bb.3:
	s_sub_i32 s6, s6, s2
	s_delay_alu instid0(SALU_CYCLE_1)
	v_cmp_gt_u32_e32 vcc_lo, s6, v0
                                        ; implicit-def: $vgpr0_vgpr1
	s_and_saveexec_b32 s6, vcc_lo
	s_cbranch_execz .LBB6_5
; %bb.4:
	s_lshl_b64 s[8:9], s[2:3], 3
	s_delay_alu instid0(SALU_CYCLE_1)
	s_add_u32 s4, s4, s8
	s_addc_u32 s5, s5, s9
	global_load_b64 v[0:1], v2, s[4:5]
.LBB6_5:
	s_or_b32 exec_lo, exec_lo, s6
	s_and_saveexec_b32 s4, vcc_lo
	s_cbranch_execz .LBB6_7
; %bb.6:
	s_lshl_b64 s[2:3], s[2:3], 3
	s_delay_alu instid0(SALU_CYCLE_1)
	s_add_u32 s0, s0, s2
	s_addc_u32 s1, s1, s3
	s_waitcnt vmcnt(0)
	global_store_b64 v2, v[0:1], s[0:1]
.LBB6_7:
	s_nop 0
	s_sendmsg sendmsg(MSG_DEALLOC_VGPRS)
	s_endpgm
	.section	.rodata,"a",@progbits
	.p2align	6, 0x0
	.amdhsa_kernel _ZN7rocprim17ROCPRIM_304000_NS6detail16transform_kernelINS1_24wrapped_transform_configINS0_14default_configEN2at4cuda3cub6detail10OpaqueTypeILi8EEEEESA_PSA_SC_NS0_8identityISA_EEEEvT1_mT2_T3_
		.amdhsa_group_segment_fixed_size 0
		.amdhsa_private_segment_fixed_size 0
		.amdhsa_kernarg_size 288
		.amdhsa_user_sgpr_count 15
		.amdhsa_user_sgpr_dispatch_ptr 0
		.amdhsa_user_sgpr_queue_ptr 0
		.amdhsa_user_sgpr_kernarg_segment_ptr 1
		.amdhsa_user_sgpr_dispatch_id 0
		.amdhsa_user_sgpr_private_segment_size 0
		.amdhsa_wavefront_size32 1
		.amdhsa_uses_dynamic_stack 0
		.amdhsa_enable_private_segment 0
		.amdhsa_system_sgpr_workgroup_id_x 1
		.amdhsa_system_sgpr_workgroup_id_y 0
		.amdhsa_system_sgpr_workgroup_id_z 0
		.amdhsa_system_sgpr_workgroup_info 0
		.amdhsa_system_vgpr_workitem_id 0
		.amdhsa_next_free_vgpr 5
		.amdhsa_next_free_sgpr 16
		.amdhsa_reserve_vcc 1
		.amdhsa_float_round_mode_32 0
		.amdhsa_float_round_mode_16_64 0
		.amdhsa_float_denorm_mode_32 3
		.amdhsa_float_denorm_mode_16_64 3
		.amdhsa_dx10_clamp 1
		.amdhsa_ieee_mode 1
		.amdhsa_fp16_overflow 0
		.amdhsa_workgroup_processor_mode 1
		.amdhsa_memory_ordered 1
		.amdhsa_forward_progress 0
		.amdhsa_shared_vgpr_count 0
		.amdhsa_exception_fp_ieee_invalid_op 0
		.amdhsa_exception_fp_denorm_src 0
		.amdhsa_exception_fp_ieee_div_zero 0
		.amdhsa_exception_fp_ieee_overflow 0
		.amdhsa_exception_fp_ieee_underflow 0
		.amdhsa_exception_fp_ieee_inexact 0
		.amdhsa_exception_int_div_zero 0
	.end_amdhsa_kernel
	.section	.text._ZN7rocprim17ROCPRIM_304000_NS6detail16transform_kernelINS1_24wrapped_transform_configINS0_14default_configEN2at4cuda3cub6detail10OpaqueTypeILi8EEEEESA_PSA_SC_NS0_8identityISA_EEEEvT1_mT2_T3_,"axG",@progbits,_ZN7rocprim17ROCPRIM_304000_NS6detail16transform_kernelINS1_24wrapped_transform_configINS0_14default_configEN2at4cuda3cub6detail10OpaqueTypeILi8EEEEESA_PSA_SC_NS0_8identityISA_EEEEvT1_mT2_T3_,comdat
.Lfunc_end6:
	.size	_ZN7rocprim17ROCPRIM_304000_NS6detail16transform_kernelINS1_24wrapped_transform_configINS0_14default_configEN2at4cuda3cub6detail10OpaqueTypeILi8EEEEESA_PSA_SC_NS0_8identityISA_EEEEvT1_mT2_T3_, .Lfunc_end6-_ZN7rocprim17ROCPRIM_304000_NS6detail16transform_kernelINS1_24wrapped_transform_configINS0_14default_configEN2at4cuda3cub6detail10OpaqueTypeILi8EEEEESA_PSA_SC_NS0_8identityISA_EEEEvT1_mT2_T3_
                                        ; -- End function
	.section	.AMDGPU.csdata,"",@progbits
; Kernel info:
; codeLenInByte = 208
; NumSgprs: 18
; NumVgprs: 5
; ScratchSize: 0
; MemoryBound: 0
; FloatMode: 240
; IeeeMode: 1
; LDSByteSize: 0 bytes/workgroup (compile time only)
; SGPRBlocks: 2
; VGPRBlocks: 0
; NumSGPRsForWavesPerEU: 18
; NumVGPRsForWavesPerEU: 5
; Occupancy: 16
; WaveLimiterHint : 0
; COMPUTE_PGM_RSRC2:SCRATCH_EN: 0
; COMPUTE_PGM_RSRC2:USER_SGPR: 15
; COMPUTE_PGM_RSRC2:TRAP_HANDLER: 0
; COMPUTE_PGM_RSRC2:TGID_X_EN: 1
; COMPUTE_PGM_RSRC2:TGID_Y_EN: 0
; COMPUTE_PGM_RSRC2:TGID_Z_EN: 0
; COMPUTE_PGM_RSRC2:TIDIG_COMP_CNT: 0
	.section	.text._ZN7rocprim17ROCPRIM_304000_NS6detail45device_block_merge_mergepath_partition_kernelINS1_37wrapped_merge_sort_block_merge_configINS0_14default_configEtN2at4cuda3cub6detail10OpaqueTypeILi8EEEEEPtjNS1_19radix_merge_compareILb1ELb1EtNS0_19identity_decomposerEEEEEvT0_T1_jPSH_T2_SH_,"axG",@progbits,_ZN7rocprim17ROCPRIM_304000_NS6detail45device_block_merge_mergepath_partition_kernelINS1_37wrapped_merge_sort_block_merge_configINS0_14default_configEtN2at4cuda3cub6detail10OpaqueTypeILi8EEEEEPtjNS1_19radix_merge_compareILb1ELb1EtNS0_19identity_decomposerEEEEEvT0_T1_jPSH_T2_SH_,comdat
	.protected	_ZN7rocprim17ROCPRIM_304000_NS6detail45device_block_merge_mergepath_partition_kernelINS1_37wrapped_merge_sort_block_merge_configINS0_14default_configEtN2at4cuda3cub6detail10OpaqueTypeILi8EEEEEPtjNS1_19radix_merge_compareILb1ELb1EtNS0_19identity_decomposerEEEEEvT0_T1_jPSH_T2_SH_ ; -- Begin function _ZN7rocprim17ROCPRIM_304000_NS6detail45device_block_merge_mergepath_partition_kernelINS1_37wrapped_merge_sort_block_merge_configINS0_14default_configEtN2at4cuda3cub6detail10OpaqueTypeILi8EEEEEPtjNS1_19radix_merge_compareILb1ELb1EtNS0_19identity_decomposerEEEEEvT0_T1_jPSH_T2_SH_
	.globl	_ZN7rocprim17ROCPRIM_304000_NS6detail45device_block_merge_mergepath_partition_kernelINS1_37wrapped_merge_sort_block_merge_configINS0_14default_configEtN2at4cuda3cub6detail10OpaqueTypeILi8EEEEEPtjNS1_19radix_merge_compareILb1ELb1EtNS0_19identity_decomposerEEEEEvT0_T1_jPSH_T2_SH_
	.p2align	8
	.type	_ZN7rocprim17ROCPRIM_304000_NS6detail45device_block_merge_mergepath_partition_kernelINS1_37wrapped_merge_sort_block_merge_configINS0_14default_configEtN2at4cuda3cub6detail10OpaqueTypeILi8EEEEEPtjNS1_19radix_merge_compareILb1ELb1EtNS0_19identity_decomposerEEEEEvT0_T1_jPSH_T2_SH_,@function
_ZN7rocprim17ROCPRIM_304000_NS6detail45device_block_merge_mergepath_partition_kernelINS1_37wrapped_merge_sort_block_merge_configINS0_14default_configEtN2at4cuda3cub6detail10OpaqueTypeILi8EEEEEPtjNS1_19radix_merge_compareILb1ELb1EtNS0_19identity_decomposerEEEEEvT0_T1_jPSH_T2_SH_: ; @_ZN7rocprim17ROCPRIM_304000_NS6detail45device_block_merge_mergepath_partition_kernelINS1_37wrapped_merge_sort_block_merge_configINS0_14default_configEtN2at4cuda3cub6detail10OpaqueTypeILi8EEEEEPtjNS1_19radix_merge_compareILb1ELb1EtNS0_19identity_decomposerEEEEEvT0_T1_jPSH_T2_SH_
; %bb.0:
	s_load_b64 s[4:5], s[0:1], 0x8
	v_lshl_or_b32 v0, s15, 7, v0
	s_mov_b32 s2, exec_lo
	s_waitcnt lgkmcnt(0)
	s_delay_alu instid0(VALU_DEP_1)
	v_cmpx_gt_u32_e64 s5, v0
	s_cbranch_execz .LBB7_6
; %bb.1:
	s_load_b64 s[2:3], s[0:1], 0x18
	s_waitcnt lgkmcnt(0)
	s_lshr_b32 s5, s3, 9
	s_delay_alu instid0(SALU_CYCLE_1) | instskip(NEXT) | instid1(SALU_CYCLE_1)
	s_and_b32 s5, s5, 0x7ffffe
	s_sub_i32 s6, 0, s5
	s_add_i32 s5, s5, -1
	v_and_b32_e32 v1, s6, v0
	v_and_b32_e32 v5, s5, v0
	s_delay_alu instid0(VALU_DEP_2) | instskip(NEXT) | instid1(VALU_DEP_1)
	v_lshlrev_b32_e32 v1, 10, v1
	v_add_nc_u32_e32 v2, s3, v1
	s_delay_alu instid0(VALU_DEP_1) | instskip(SKIP_1) | instid1(VALU_DEP_2)
	v_min_u32_e32 v4, s4, v2
	v_min_u32_e32 v2, s4, v1
	v_add_nc_u32_e32 v3, s3, v4
	s_mov_b32 s3, exec_lo
	s_delay_alu instid0(VALU_DEP_1) | instskip(SKIP_1) | instid1(VALU_DEP_2)
	v_min_u32_e32 v1, s4, v3
	v_lshlrev_b32_e32 v3, 10, v5
	v_sub_nc_u32_e32 v5, v1, v2
	v_sub_nc_u32_e32 v6, v1, v4
	s_delay_alu instid0(VALU_DEP_2) | instskip(SKIP_1) | instid1(VALU_DEP_2)
	v_min_u32_e32 v1, v5, v3
	v_sub_nc_u32_e32 v3, v4, v2
	v_sub_nc_u32_e64 v6, v1, v6 clamp
	s_delay_alu instid0(VALU_DEP_2) | instskip(NEXT) | instid1(VALU_DEP_1)
	v_min_u32_e32 v7, v1, v3
	v_cmpx_lt_u32_e64 v6, v7
	s_cbranch_execz .LBB7_5
; %bb.2:
	s_load_b64 s[4:5], s[0:1], 0x0
	v_mov_b32_e32 v5, 0
	s_delay_alu instid0(VALU_DEP_1) | instskip(SKIP_1) | instid1(VALU_DEP_2)
	v_mov_b32_e32 v3, v5
	v_lshlrev_b64 v[10:11], 1, v[4:5]
	v_lshlrev_b64 v[8:9], 1, v[2:3]
	s_waitcnt lgkmcnt(0)
	s_delay_alu instid0(VALU_DEP_1) | instskip(NEXT) | instid1(VALU_DEP_2)
	v_add_co_u32 v3, vcc_lo, s4, v8
	v_add_co_ci_u32_e32 v8, vcc_lo, s5, v9, vcc_lo
	s_delay_alu instid0(VALU_DEP_4)
	v_add_co_u32 v9, vcc_lo, s4, v10
	v_add_co_ci_u32_e32 v10, vcc_lo, s5, v11, vcc_lo
	s_mov_b32 s4, 0
	.p2align	6
.LBB7_3:                                ; =>This Inner Loop Header: Depth=1
	v_add_nc_u32_e32 v4, v7, v6
	s_delay_alu instid0(VALU_DEP_1) | instskip(SKIP_1) | instid1(VALU_DEP_2)
	v_lshrrev_b32_e32 v15, 1, v4
	v_and_b32_e32 v11, -2, v4
	v_xad_u32 v4, v15, -1, v1
	s_delay_alu instid0(VALU_DEP_2) | instskip(SKIP_1) | instid1(VALU_DEP_3)
	v_add_co_u32 v11, vcc_lo, v3, v11
	v_add_co_ci_u32_e32 v12, vcc_lo, 0, v8, vcc_lo
	v_lshlrev_b64 v[13:14], 1, v[4:5]
	s_delay_alu instid0(VALU_DEP_1) | instskip(NEXT) | instid1(VALU_DEP_2)
	v_add_co_u32 v13, vcc_lo, v9, v13
	v_add_co_ci_u32_e32 v14, vcc_lo, v10, v14, vcc_lo
	s_clause 0x1
	global_load_u16 v4, v[11:12], off
	global_load_u16 v11, v[13:14], off
	v_add_nc_u32_e32 v12, 1, v15
	s_waitcnt vmcnt(1)
	v_and_b32_e32 v4, s2, v4
	s_waitcnt vmcnt(0)
	v_and_b32_e32 v11, s2, v11
	s_delay_alu instid0(VALU_DEP_1) | instskip(SKIP_1) | instid1(VALU_DEP_1)
	v_cmp_gt_u16_e32 vcc_lo, v11, v4
	v_dual_cndmask_b32 v7, v7, v15 :: v_dual_cndmask_b32 v6, v12, v6
	v_cmp_ge_u32_e32 vcc_lo, v6, v7
	s_or_b32 s4, vcc_lo, s4
	s_delay_alu instid0(SALU_CYCLE_1)
	s_and_not1_b32 exec_lo, exec_lo, s4
	s_cbranch_execnz .LBB7_3
; %bb.4:
	s_or_b32 exec_lo, exec_lo, s4
.LBB7_5:
	s_delay_alu instid0(SALU_CYCLE_1) | instskip(SKIP_2) | instid1(VALU_DEP_1)
	s_or_b32 exec_lo, exec_lo, s3
	s_load_b64 s[0:1], s[0:1], 0x10
	v_dual_mov_b32 v1, 0 :: v_dual_add_nc_u32 v2, v6, v2
	v_lshlrev_b64 v[0:1], 2, v[0:1]
	s_waitcnt lgkmcnt(0)
	s_delay_alu instid0(VALU_DEP_1) | instskip(NEXT) | instid1(VALU_DEP_2)
	v_add_co_u32 v0, vcc_lo, s0, v0
	v_add_co_ci_u32_e32 v1, vcc_lo, s1, v1, vcc_lo
	global_store_b32 v[0:1], v2, off
.LBB7_6:
	s_nop 0
	s_sendmsg sendmsg(MSG_DEALLOC_VGPRS)
	s_endpgm
	.section	.rodata,"a",@progbits
	.p2align	6, 0x0
	.amdhsa_kernel _ZN7rocprim17ROCPRIM_304000_NS6detail45device_block_merge_mergepath_partition_kernelINS1_37wrapped_merge_sort_block_merge_configINS0_14default_configEtN2at4cuda3cub6detail10OpaqueTypeILi8EEEEEPtjNS1_19radix_merge_compareILb1ELb1EtNS0_19identity_decomposerEEEEEvT0_T1_jPSH_T2_SH_
		.amdhsa_group_segment_fixed_size 0
		.amdhsa_private_segment_fixed_size 0
		.amdhsa_kernarg_size 32
		.amdhsa_user_sgpr_count 15
		.amdhsa_user_sgpr_dispatch_ptr 0
		.amdhsa_user_sgpr_queue_ptr 0
		.amdhsa_user_sgpr_kernarg_segment_ptr 1
		.amdhsa_user_sgpr_dispatch_id 0
		.amdhsa_user_sgpr_private_segment_size 0
		.amdhsa_wavefront_size32 1
		.amdhsa_uses_dynamic_stack 0
		.amdhsa_enable_private_segment 0
		.amdhsa_system_sgpr_workgroup_id_x 1
		.amdhsa_system_sgpr_workgroup_id_y 0
		.amdhsa_system_sgpr_workgroup_id_z 0
		.amdhsa_system_sgpr_workgroup_info 0
		.amdhsa_system_vgpr_workitem_id 0
		.amdhsa_next_free_vgpr 16
		.amdhsa_next_free_sgpr 16
		.amdhsa_reserve_vcc 1
		.amdhsa_float_round_mode_32 0
		.amdhsa_float_round_mode_16_64 0
		.amdhsa_float_denorm_mode_32 3
		.amdhsa_float_denorm_mode_16_64 3
		.amdhsa_dx10_clamp 1
		.amdhsa_ieee_mode 1
		.amdhsa_fp16_overflow 0
		.amdhsa_workgroup_processor_mode 1
		.amdhsa_memory_ordered 1
		.amdhsa_forward_progress 0
		.amdhsa_shared_vgpr_count 0
		.amdhsa_exception_fp_ieee_invalid_op 0
		.amdhsa_exception_fp_denorm_src 0
		.amdhsa_exception_fp_ieee_div_zero 0
		.amdhsa_exception_fp_ieee_overflow 0
		.amdhsa_exception_fp_ieee_underflow 0
		.amdhsa_exception_fp_ieee_inexact 0
		.amdhsa_exception_int_div_zero 0
	.end_amdhsa_kernel
	.section	.text._ZN7rocprim17ROCPRIM_304000_NS6detail45device_block_merge_mergepath_partition_kernelINS1_37wrapped_merge_sort_block_merge_configINS0_14default_configEtN2at4cuda3cub6detail10OpaqueTypeILi8EEEEEPtjNS1_19radix_merge_compareILb1ELb1EtNS0_19identity_decomposerEEEEEvT0_T1_jPSH_T2_SH_,"axG",@progbits,_ZN7rocprim17ROCPRIM_304000_NS6detail45device_block_merge_mergepath_partition_kernelINS1_37wrapped_merge_sort_block_merge_configINS0_14default_configEtN2at4cuda3cub6detail10OpaqueTypeILi8EEEEEPtjNS1_19radix_merge_compareILb1ELb1EtNS0_19identity_decomposerEEEEEvT0_T1_jPSH_T2_SH_,comdat
.Lfunc_end7:
	.size	_ZN7rocprim17ROCPRIM_304000_NS6detail45device_block_merge_mergepath_partition_kernelINS1_37wrapped_merge_sort_block_merge_configINS0_14default_configEtN2at4cuda3cub6detail10OpaqueTypeILi8EEEEEPtjNS1_19radix_merge_compareILb1ELb1EtNS0_19identity_decomposerEEEEEvT0_T1_jPSH_T2_SH_, .Lfunc_end7-_ZN7rocprim17ROCPRIM_304000_NS6detail45device_block_merge_mergepath_partition_kernelINS1_37wrapped_merge_sort_block_merge_configINS0_14default_configEtN2at4cuda3cub6detail10OpaqueTypeILi8EEEEEPtjNS1_19radix_merge_compareILb1ELb1EtNS0_19identity_decomposerEEEEEvT0_T1_jPSH_T2_SH_
                                        ; -- End function
	.section	.AMDGPU.csdata,"",@progbits
; Kernel info:
; codeLenInByte = 468
; NumSgprs: 18
; NumVgprs: 16
; ScratchSize: 0
; MemoryBound: 0
; FloatMode: 240
; IeeeMode: 1
; LDSByteSize: 0 bytes/workgroup (compile time only)
; SGPRBlocks: 2
; VGPRBlocks: 1
; NumSGPRsForWavesPerEU: 18
; NumVGPRsForWavesPerEU: 16
; Occupancy: 16
; WaveLimiterHint : 0
; COMPUTE_PGM_RSRC2:SCRATCH_EN: 0
; COMPUTE_PGM_RSRC2:USER_SGPR: 15
; COMPUTE_PGM_RSRC2:TRAP_HANDLER: 0
; COMPUTE_PGM_RSRC2:TGID_X_EN: 1
; COMPUTE_PGM_RSRC2:TGID_Y_EN: 0
; COMPUTE_PGM_RSRC2:TGID_Z_EN: 0
; COMPUTE_PGM_RSRC2:TIDIG_COMP_CNT: 0
	.section	.text._ZN7rocprim17ROCPRIM_304000_NS6detail35device_block_merge_mergepath_kernelINS1_37wrapped_merge_sort_block_merge_configINS0_14default_configEtN2at4cuda3cub6detail10OpaqueTypeILi8EEEEEPtSC_PSA_SD_jNS1_19radix_merge_compareILb1ELb1EtNS0_19identity_decomposerEEEEEvT0_T1_T2_T3_T4_SL_jT5_PKSL_NS1_7vsmem_tE,"axG",@progbits,_ZN7rocprim17ROCPRIM_304000_NS6detail35device_block_merge_mergepath_kernelINS1_37wrapped_merge_sort_block_merge_configINS0_14default_configEtN2at4cuda3cub6detail10OpaqueTypeILi8EEEEEPtSC_PSA_SD_jNS1_19radix_merge_compareILb1ELb1EtNS0_19identity_decomposerEEEEEvT0_T1_T2_T3_T4_SL_jT5_PKSL_NS1_7vsmem_tE,comdat
	.protected	_ZN7rocprim17ROCPRIM_304000_NS6detail35device_block_merge_mergepath_kernelINS1_37wrapped_merge_sort_block_merge_configINS0_14default_configEtN2at4cuda3cub6detail10OpaqueTypeILi8EEEEEPtSC_PSA_SD_jNS1_19radix_merge_compareILb1ELb1EtNS0_19identity_decomposerEEEEEvT0_T1_T2_T3_T4_SL_jT5_PKSL_NS1_7vsmem_tE ; -- Begin function _ZN7rocprim17ROCPRIM_304000_NS6detail35device_block_merge_mergepath_kernelINS1_37wrapped_merge_sort_block_merge_configINS0_14default_configEtN2at4cuda3cub6detail10OpaqueTypeILi8EEEEEPtSC_PSA_SD_jNS1_19radix_merge_compareILb1ELb1EtNS0_19identity_decomposerEEEEEvT0_T1_T2_T3_T4_SL_jT5_PKSL_NS1_7vsmem_tE
	.globl	_ZN7rocprim17ROCPRIM_304000_NS6detail35device_block_merge_mergepath_kernelINS1_37wrapped_merge_sort_block_merge_configINS0_14default_configEtN2at4cuda3cub6detail10OpaqueTypeILi8EEEEEPtSC_PSA_SD_jNS1_19radix_merge_compareILb1ELb1EtNS0_19identity_decomposerEEEEEvT0_T1_T2_T3_T4_SL_jT5_PKSL_NS1_7vsmem_tE
	.p2align	8
	.type	_ZN7rocprim17ROCPRIM_304000_NS6detail35device_block_merge_mergepath_kernelINS1_37wrapped_merge_sort_block_merge_configINS0_14default_configEtN2at4cuda3cub6detail10OpaqueTypeILi8EEEEEPtSC_PSA_SD_jNS1_19radix_merge_compareILb1ELb1EtNS0_19identity_decomposerEEEEEvT0_T1_T2_T3_T4_SL_jT5_PKSL_NS1_7vsmem_tE,@function
_ZN7rocprim17ROCPRIM_304000_NS6detail35device_block_merge_mergepath_kernelINS1_37wrapped_merge_sort_block_merge_configINS0_14default_configEtN2at4cuda3cub6detail10OpaqueTypeILi8EEEEEPtSC_PSA_SD_jNS1_19radix_merge_compareILb1ELb1EtNS0_19identity_decomposerEEEEEvT0_T1_T2_T3_T4_SL_jT5_PKSL_NS1_7vsmem_tE: ; @_ZN7rocprim17ROCPRIM_304000_NS6detail35device_block_merge_mergepath_kernelINS1_37wrapped_merge_sort_block_merge_configINS0_14default_configEtN2at4cuda3cub6detail10OpaqueTypeILi8EEEEEPtSC_PSA_SD_jNS1_19radix_merge_compareILb1ELb1EtNS0_19identity_decomposerEEEEEvT0_T1_T2_T3_T4_SL_jT5_PKSL_NS1_7vsmem_tE
; %bb.0:
	s_clause 0x1
	s_load_b64 s[24:25], s[0:1], 0x40
	s_load_b128 s[16:19], s[0:1], 0x20
	s_add_u32 s22, s0, 64
	s_addc_u32 s23, s1, 0
	s_waitcnt lgkmcnt(0)
	s_mul_i32 s2, s25, s15
	s_delay_alu instid0(SALU_CYCLE_1) | instskip(NEXT) | instid1(SALU_CYCLE_1)
	s_add_i32 s2, s2, s14
	s_mul_i32 s2, s2, s24
	s_delay_alu instid0(SALU_CYCLE_1) | instskip(NEXT) | instid1(SALU_CYCLE_1)
	s_add_i32 s2, s2, s13
	s_cmp_ge_u32 s2, s18
	s_cbranch_scc1 .LBB8_53
; %bb.1:
	s_load_b64 s[4:5], s[0:1], 0x30
	s_lshr_b32 s30, s16, 10
	s_mov_b32 s15, 0
	s_cmp_lg_u32 s2, s30
	s_mov_b32 s3, s15
	s_cselect_b32 s18, -1, 0
	s_lshl_b64 s[6:7], s[2:3], 2
	v_mov_b32_e32 v4, 0
	s_mov_b32 s21, s15
	v_lshlrev_b32_e32 v5, 1, v0
	s_waitcnt lgkmcnt(0)
	s_add_u32 s4, s4, s6
	s_addc_u32 s5, s5, s7
	s_lshl_b32 s12, s2, 10
	s_load_b64 s[26:27], s[4:5], 0x0
	s_load_b256 s[4:11], s[0:1], 0x0
	global_load_b32 v1, v4, s[22:23] offset:14
	s_lshr_b32 s0, s17, 9
	s_delay_alu instid0(SALU_CYCLE_1) | instskip(NEXT) | instid1(SALU_CYCLE_1)
	s_and_b32 s0, s0, 0x7ffffe
	s_sub_i32 s0, 0, s0
	s_delay_alu instid0(SALU_CYCLE_1)
	s_and_b32 s1, s2, s0
	s_or_b32 s0, s2, s0
	s_lshl_b32 s3, s1, 11
	s_lshl_b32 s1, s1, 10
	s_add_i32 s3, s3, s17
	s_sub_i32 s14, s12, s1
	s_sub_i32 s1, s3, s1
	s_add_i32 s3, s3, s14
	s_min_u32 s25, s16, s1
	s_add_i32 s1, s1, s17
	s_waitcnt lgkmcnt(0)
	s_sub_i32 s14, s3, s26
	s_sub_i32 s3, s3, s27
	s_min_u32 s20, s16, s14
	s_addk_i32 s3, 0x400
	s_cmp_eq_u32 s0, -1
	s_mov_b32 s14, s26
	s_cselect_b32 s3, s1, s3
	s_cselect_b32 s17, s25, s27
	s_min_u32 s3, s3, s16
	s_lshl_b64 s[0:1], s[14:15], 1
	s_sub_i32 s17, s17, s26
	s_sub_i32 s25, s3, s20
	s_add_u32 s26, s4, s0
	s_addc_u32 s27, s5, s1
	s_lshl_b64 s[28:29], s[20:21], 1
	v_cmp_gt_u32_e32 vcc_lo, s17, v0
	s_add_u32 s1, s4, s28
	s_addc_u32 s4, s5, s29
	s_cmp_lt_u32 s13, s24
	s_cselect_b32 s0, 12, 18
	s_delay_alu instid0(SALU_CYCLE_1)
	s_add_u32 s22, s22, s0
	s_addc_u32 s23, s23, 0
	s_cmp_eq_u32 s2, s30
	s_mov_b32 s0, -1
	s_waitcnt vmcnt(0)
	v_lshrrev_b32_e32 v3, 16, v1
	v_and_b32_e32 v1, 0xffff, v1
	global_load_u16 v2, v4, s[22:23]
	v_mul_lo_u32 v1, v1, v3
	s_waitcnt vmcnt(0)
	s_delay_alu instid0(VALU_DEP_1) | instskip(NEXT) | instid1(VALU_DEP_1)
	v_mul_lo_u32 v1, v1, v2
	v_add_nc_u32_e32 v1, v1, v0
	s_cbranch_scc1 .LBB8_3
; %bb.2:
	v_subrev_nc_u32_e32 v3, s17, v0
	v_add_co_u32 v6, s0, s26, v5
	s_delay_alu instid0(VALU_DEP_1) | instskip(NEXT) | instid1(VALU_DEP_3)
	v_add_co_ci_u32_e64 v7, null, s27, 0, s0
	v_lshlrev_b64 v[2:3], 1, v[3:4]
	s_add_i32 s3, s25, s17
	s_delay_alu instid0(VALU_DEP_1) | instskip(NEXT) | instid1(VALU_DEP_1)
	v_add_co_u32 v2, s0, s1, v2
	v_add_co_ci_u32_e64 v3, s0, s4, v3, s0
	s_mov_b32 s0, s15
	s_delay_alu instid0(VALU_DEP_1) | instskip(SKIP_3) | instid1(VALU_DEP_2)
	v_dual_cndmask_b32 v2, v2, v6 :: v_dual_cndmask_b32 v3, v3, v7
	global_load_u16 v6, v[2:3], off
	v_mov_b32_e32 v2, v4
	v_subrev_nc_u32_e32 v3, s17, v1
	v_lshlrev_b64 v[7:8], 1, v[1:2]
	s_delay_alu instid0(VALU_DEP_2) | instskip(NEXT) | instid1(VALU_DEP_2)
	v_lshlrev_b64 v[2:3], 1, v[3:4]
	v_add_co_u32 v4, vcc_lo, s26, v7
	s_delay_alu instid0(VALU_DEP_3) | instskip(NEXT) | instid1(VALU_DEP_3)
	v_add_co_ci_u32_e32 v7, vcc_lo, s27, v8, vcc_lo
	v_add_co_u32 v2, vcc_lo, s1, v2
	s_delay_alu instid0(VALU_DEP_4) | instskip(SKIP_1) | instid1(VALU_DEP_2)
	v_add_co_ci_u32_e32 v3, vcc_lo, s4, v3, vcc_lo
	v_cmp_gt_u32_e32 vcc_lo, s17, v1
	v_dual_cndmask_b32 v3, v3, v7 :: v_dual_cndmask_b32 v2, v2, v4
	global_load_d16_hi_b16 v6, v[2:3], off
	s_and_not1_b32 vcc_lo, exec_lo, s0
	s_cbranch_vccz .LBB8_4
	s_branch .LBB8_9
.LBB8_3:
                                        ; implicit-def: $vgpr6
                                        ; implicit-def: $sgpr3
	s_and_not1_b32 vcc_lo, exec_lo, s0
	s_cbranch_vccnz .LBB8_9
.LBB8_4:
	s_add_i32 s3, s25, s17
	s_mov_b32 s0, exec_lo
                                        ; implicit-def: $vgpr6
	v_cmpx_gt_u32_e64 s3, v0
	s_cbranch_execz .LBB8_6
; %bb.5:
	v_subrev_nc_u32_e32 v2, s17, v0
	v_add_co_u32 v4, s2, s26, v5
	v_mov_b32_e32 v3, 0
	s_waitcnt vmcnt(0)
	v_add_co_ci_u32_e64 v6, null, s27, 0, s2
	s_delay_alu instid0(VALU_DEP_2) | instskip(NEXT) | instid1(VALU_DEP_1)
	v_lshlrev_b64 v[2:3], 1, v[2:3]
	v_add_co_u32 v2, vcc_lo, s1, v2
	s_delay_alu instid0(VALU_DEP_2) | instskip(SKIP_1) | instid1(VALU_DEP_2)
	v_add_co_ci_u32_e32 v3, vcc_lo, s4, v3, vcc_lo
	v_cmp_gt_u32_e32 vcc_lo, s17, v0
	v_dual_cndmask_b32 v2, v2, v4 :: v_dual_cndmask_b32 v3, v3, v6
	global_load_d16_b16 v6, v[2:3], off
.LBB8_6:
	s_or_b32 exec_lo, exec_lo, s0
	s_delay_alu instid0(SALU_CYCLE_1)
	s_mov_b32 s2, exec_lo
	v_cmpx_gt_u32_e64 s3, v1
	s_cbranch_execz .LBB8_8
; %bb.7:
	v_mov_b32_e32 v2, 0
	s_delay_alu instid0(VALU_DEP_1) | instskip(NEXT) | instid1(VALU_DEP_1)
	v_lshlrev_b64 v[3:4], 1, v[1:2]
	v_add_co_u32 v3, vcc_lo, s26, v3
	s_delay_alu instid0(VALU_DEP_2) | instskip(SKIP_2) | instid1(VALU_DEP_1)
	v_add_co_ci_u32_e32 v4, vcc_lo, s27, v4, vcc_lo
	v_cmp_gt_u32_e32 vcc_lo, s17, v1
	v_subrev_nc_u32_e32 v1, s17, v1
	v_lshlrev_b64 v[1:2], 1, v[1:2]
	s_delay_alu instid0(VALU_DEP_1) | instskip(NEXT) | instid1(VALU_DEP_1)
	v_add_co_u32 v1, s0, s1, v1
	v_add_co_ci_u32_e64 v2, s0, s4, v2, s0
	s_delay_alu instid0(VALU_DEP_1)
	v_dual_cndmask_b32 v1, v1, v3 :: v_dual_cndmask_b32 v2, v2, v4
	global_load_d16_hi_b16 v6, v[1:2], off
.LBB8_8:
	s_or_b32 exec_lo, exec_lo, s2
.LBB8_9:
	v_min_u32_e32 v2, s3, v5
	s_mov_b32 s0, exec_lo
	s_waitcnt vmcnt(0)
	ds_store_b16 v5, v6
	ds_store_b16_d16_hi v5, v6 offset:1024
	s_waitcnt lgkmcnt(0)
	s_barrier
	v_sub_nc_u32_e64 v1, v2, s25 clamp
	v_min_u32_e32 v3, s17, v2
	buffer_gl0_inv
	v_cmpx_lt_u32_e64 v1, v3
	s_cbranch_execz .LBB8_13
; %bb.10:
	v_lshlrev_b32_e32 v4, 1, v2
	s_mov_b32 s1, 0
	s_delay_alu instid0(VALU_DEP_1)
	v_lshl_add_u32 v4, s17, 1, v4
	.p2align	6
.LBB8_11:                               ; =>This Inner Loop Header: Depth=1
	v_add_nc_u32_e32 v7, v3, v1
	s_delay_alu instid0(VALU_DEP_1) | instskip(SKIP_1) | instid1(VALU_DEP_2)
	v_lshrrev_b32_e32 v8, 1, v7
	v_and_b32_e32 v7, -2, v7
	v_not_b32_e32 v9, v8
	v_add_nc_u32_e32 v10, 1, v8
	s_delay_alu instid0(VALU_DEP_2)
	v_lshl_add_u32 v9, v9, 1, v4
	ds_load_u16 v7, v7
	ds_load_u16 v9, v9
	s_waitcnt lgkmcnt(1)
	v_and_b32_e32 v7, s19, v7
	s_waitcnt lgkmcnt(0)
	v_and_b32_e32 v9, s19, v9
	s_delay_alu instid0(VALU_DEP_1) | instskip(SKIP_2) | instid1(VALU_DEP_1)
	v_cmp_gt_u16_e32 vcc_lo, v9, v7
	v_cndmask_b32_e32 v3, v3, v8, vcc_lo
	v_cndmask_b32_e32 v1, v10, v1, vcc_lo
	v_cmp_ge_u32_e32 vcc_lo, v1, v3
	s_or_b32 s1, vcc_lo, s1
	s_delay_alu instid0(SALU_CYCLE_1)
	s_and_not1_b32 exec_lo, exec_lo, s1
	s_cbranch_execnz .LBB8_11
; %bb.12:
	s_or_b32 exec_lo, exec_lo, s1
.LBB8_13:
	s_delay_alu instid0(SALU_CYCLE_1) | instskip(SKIP_2) | instid1(VALU_DEP_2)
	s_or_b32 exec_lo, exec_lo, s0
	v_sub_nc_u32_e32 v2, v2, v1
	v_cmp_ge_u32_e32 vcc_lo, s17, v1
                                        ; implicit-def: $vgpr8
                                        ; implicit-def: $vgpr9
	v_add_nc_u32_e32 v2, s17, v2
	s_delay_alu instid0(VALU_DEP_1) | instskip(NEXT) | instid1(VALU_DEP_1)
	v_cmp_ge_u32_e64 s0, s3, v2
	s_or_b32 s0, vcc_lo, s0
	s_delay_alu instid0(SALU_CYCLE_1)
	s_and_saveexec_b32 s4, s0
	s_cbranch_execz .LBB8_19
; %bb.14:
	v_cmp_gt_u32_e32 vcc_lo, s17, v1
                                        ; implicit-def: $vgpr3
	s_and_saveexec_b32 s0, vcc_lo
	s_cbranch_execz .LBB8_16
; %bb.15:
	v_lshlrev_b32_e32 v3, 1, v1
	ds_load_u16 v3, v3
.LBB8_16:
	s_or_b32 exec_lo, exec_lo, s0
	v_cmp_le_u32_e64 s0, s3, v2
	s_mov_b32 s2, exec_lo
                                        ; implicit-def: $vgpr4
	v_cmpx_gt_u32_e64 s3, v2
	s_cbranch_execz .LBB8_18
; %bb.17:
	v_lshlrev_b32_e32 v4, 1, v2
	ds_load_u16 v4, v4
.LBB8_18:
	s_or_b32 exec_lo, exec_lo, s2
	s_waitcnt lgkmcnt(0)
	v_and_b32_e32 v6, s19, v4
	v_and_b32_e32 v7, s19, v3
	s_delay_alu instid0(VALU_DEP_1) | instskip(SKIP_1) | instid1(VALU_DEP_2)
	v_cmp_le_u16_e64 s1, v6, v7
	v_mov_b32_e32 v6, s17
	s_and_b32 s1, vcc_lo, s1
	s_delay_alu instid0(SALU_CYCLE_1) | instskip(SKIP_1) | instid1(VALU_DEP_1)
	s_or_b32 vcc_lo, s0, s1
	v_cndmask_b32_e32 v9, v2, v1, vcc_lo
	v_dual_cndmask_b32 v6, s3, v6 :: v_dual_add_nc_u32 v7, 1, v9
	s_delay_alu instid0(VALU_DEP_1) | instskip(NEXT) | instid1(VALU_DEP_1)
	v_dual_cndmask_b32 v1, v1, v7 :: v_dual_add_nc_u32 v6, -1, v6
	v_min_u32_e32 v6, v7, v6
	v_cndmask_b32_e32 v2, v7, v2, vcc_lo
	s_delay_alu instid0(VALU_DEP_3) | instskip(NEXT) | instid1(VALU_DEP_3)
	v_cmp_gt_u32_e64 s0, s17, v1
	v_lshlrev_b32_e32 v6, 1, v6
	s_delay_alu instid0(VALU_DEP_3) | instskip(SKIP_4) | instid1(VALU_DEP_1)
	v_cmp_le_u32_e64 s2, s3, v2
	ds_load_u16 v6, v6
	s_waitcnt lgkmcnt(0)
	v_cndmask_b32_e32 v10, v6, v4, vcc_lo
	v_dual_cndmask_b32 v6, v3, v6 :: v_dual_cndmask_b32 v3, v4, v3
	v_and_b32_e32 v11, s19, v6
	s_delay_alu instid0(VALU_DEP_3) | instskip(NEXT) | instid1(VALU_DEP_1)
	v_and_b32_e32 v8, s19, v10
	v_cmp_le_u16_e64 s1, v8, v11
	s_delay_alu instid0(VALU_DEP_1) | instskip(NEXT) | instid1(SALU_CYCLE_1)
	s_and_b32 s0, s0, s1
	s_or_b32 vcc_lo, s2, s0
	v_cndmask_b32_e32 v8, v2, v1, vcc_lo
	v_cndmask_b32_e32 v1, v10, v6, vcc_lo
	s_delay_alu instid0(VALU_DEP_1)
	v_perm_b32 v6, v1, v3, 0x5040100
.LBB8_19:
	s_or_b32 exec_lo, exec_lo, s4
	s_lshl_b64 s[0:1], s[14:15], 3
	v_or_b32_e32 v7, 0x200, v0
	s_add_u32 s2, s8, s0
	s_addc_u32 s4, s9, s1
	s_lshl_b64 s[14:15], s[20:21], 3
	v_cmp_gt_u32_e64 s1, s17, v0
	v_cmp_le_u32_e64 s0, s17, v0
	s_add_u32 s8, s8, s14
	s_mov_b32 s5, 0
	s_addc_u32 s9, s9, s15
	s_and_not1_b32 vcc_lo, exec_lo, s18
	s_barrier
	buffer_gl0_inv
	s_cbranch_vccnz .LBB8_21
; %bb.20:
	v_subrev_nc_u32_e32 v1, s17, v0
	v_mov_b32_e32 v2, 0
	v_lshlrev_b32_e32 v12, 3, v0
	s_delay_alu instid0(VALU_DEP_2) | instskip(NEXT) | instid1(VALU_DEP_2)
	v_lshlrev_b64 v[3:4], 3, v[1:2]
	v_add_co_u32 v13, s5, s2, v12
	s_delay_alu instid0(VALU_DEP_1) | instskip(SKIP_1) | instid1(VALU_DEP_3)
	v_add_co_ci_u32_e64 v14, null, s4, 0, s5
	s_mov_b32 s5, -1
	v_add_co_u32 v1, vcc_lo, s8, v3
	s_delay_alu instid0(VALU_DEP_4) | instskip(NEXT) | instid1(VALU_DEP_1)
	v_add_co_ci_u32_e32 v3, vcc_lo, s9, v4, vcc_lo
	v_cndmask_b32_e64 v4, v3, v14, s1
	s_delay_alu instid0(VALU_DEP_3)
	v_cndmask_b32_e64 v3, v1, v13, s1
	v_subrev_nc_u32_e32 v1, s17, v7
	global_load_b64 v[10:11], v[3:4], off
	v_lshlrev_b64 v[1:2], 3, v[1:2]
	v_add_co_u32 v3, vcc_lo, 0x1000, v13
	v_add_co_ci_u32_e32 v4, vcc_lo, 0, v14, vcc_lo
	s_delay_alu instid0(VALU_DEP_3) | instskip(NEXT) | instid1(VALU_DEP_4)
	v_add_co_u32 v1, vcc_lo, s8, v1
	v_add_co_ci_u32_e32 v2, vcc_lo, s9, v2, vcc_lo
	v_cmp_gt_u32_e32 vcc_lo, s17, v7
	s_delay_alu instid0(VALU_DEP_2)
	v_dual_cndmask_b32 v1, v1, v3 :: v_dual_cndmask_b32 v2, v2, v4
	v_or_b32_e32 v4, 0x1000, v12
	s_waitcnt vmcnt(0)
	ds_store_b64 v12, v[10:11]
	s_cbranch_execz .LBB8_22
	s_branch .LBB8_33
.LBB8_21:
                                        ; implicit-def: $vgpr4
                                        ; implicit-def: $vgpr1_vgpr2
.LBB8_22:
	s_mov_b32 s1, 0
                                        ; implicit-def: $vgpr1_vgpr2
	s_and_saveexec_b32 s13, s0
	s_delay_alu instid0(SALU_CYCLE_1)
	s_xor_b32 s0, exec_lo, s13
	s_cbranch_execnz .LBB8_54
; %bb.23:
	s_and_not1_saveexec_b32 s0, s0
	s_cbranch_execnz .LBB8_57
.LBB8_24:
	s_or_b32 exec_lo, exec_lo, s0
	s_and_saveexec_b32 s0, s1
	s_cbranch_execz .LBB8_26
.LBB8_25:
	global_load_b64 v[1:2], v[1:2], off
	v_mad_u32_u24 v3, v0, 6, v5
	s_waitcnt vmcnt(0)
	ds_store_b64 v3, v[1:2]
.LBB8_26:
	s_or_b32 exec_lo, exec_lo, s0
	s_delay_alu instid0(SALU_CYCLE_1)
	s_mov_b32 s0, exec_lo
                                        ; implicit-def: $vgpr4
                                        ; implicit-def: $vgpr1_vgpr2
	v_cmpx_le_u32_e64 s17, v7
	s_xor_b32 s0, exec_lo, s0
	s_cbranch_execz .LBB8_30
; %bb.27:
	v_subrev_nc_u32_e32 v3, s17, v7
	s_mov_b32 s13, s5
	s_mov_b32 s1, exec_lo
                                        ; implicit-def: $vgpr4
                                        ; implicit-def: $vgpr1_vgpr2
	s_delay_alu instid0(VALU_DEP_1)
	v_cmpx_gt_u32_e64 s25, v3
; %bb.28:
	v_mov_b32_e32 v4, 0
	v_mul_u32_u24_e32 v10, 6, v0
	s_or_b32 s13, s5, exec_lo
	s_delay_alu instid0(VALU_DEP_2) | instskip(NEXT) | instid1(VALU_DEP_2)
	v_lshlrev_b64 v[1:2], 3, v[3:4]
	v_add3_u32 v4, v5, v10, 0x1000
	s_delay_alu instid0(VALU_DEP_2) | instskip(NEXT) | instid1(VALU_DEP_3)
	v_add_co_u32 v1, vcc_lo, s8, v1
	v_add_co_ci_u32_e32 v2, vcc_lo, s9, v2, vcc_lo
; %bb.29:
	s_or_b32 exec_lo, exec_lo, s1
	s_delay_alu instid0(SALU_CYCLE_1) | instskip(SKIP_1) | instid1(SALU_CYCLE_1)
	s_and_not1_b32 s1, s5, exec_lo
	s_and_b32 s5, s13, exec_lo
	s_or_b32 s5, s1, s5
.LBB8_30:
	s_and_not1_saveexec_b32 s0, s0
; %bb.31:
	v_lshlrev_b32_e32 v1, 3, v7
	v_mul_u32_u24_e32 v3, 6, v0
	s_or_b32 s5, s5, exec_lo
	s_delay_alu instid0(VALU_DEP_2) | instskip(NEXT) | instid1(VALU_DEP_1)
	v_add_co_u32 v1, s1, s2, v1
	v_add_co_ci_u32_e64 v2, null, s4, 0, s1
	s_delay_alu instid0(VALU_DEP_3)
	v_add3_u32 v4, v5, v3, 0x1000
; %bb.32:
	s_or_b32 exec_lo, exec_lo, s0
.LBB8_33:
	s_and_saveexec_b32 s0, s5
	s_cbranch_execz .LBB8_35
; %bb.34:
	global_load_b64 v[1:2], v[1:2], off
	s_waitcnt vmcnt(0)
	ds_store_b64 v4, v[1:2]
.LBB8_35:
	s_or_b32 exec_lo, exec_lo, s0
	v_add_nc_u32_e32 v1, s12, v5
	s_and_not1_b32 vcc_lo, exec_lo, s18
	s_waitcnt lgkmcnt(0)
	s_barrier
	buffer_gl0_inv
	s_cbranch_vccnz .LBB8_37
; %bb.36:
	v_lshlrev_b32_e32 v2, 3, v9
	s_mov_b32 s0, -1
	ds_load_b64 v[3:4], v2
	v_mov_b32_e32 v2, 0
	s_delay_alu instid0(VALU_DEP_1) | instskip(NEXT) | instid1(VALU_DEP_1)
	v_lshlrev_b64 v[10:11], 3, v[1:2]
	v_add_co_u32 v10, vcc_lo, s10, v10
	s_delay_alu instid0(VALU_DEP_2)
	v_add_co_ci_u32_e32 v11, vcc_lo, s11, v11, vcc_lo
	s_waitcnt lgkmcnt(0)
	global_store_b64 v[10:11], v[3:4], off
	s_cbranch_execz .LBB8_38
	s_branch .LBB8_43
.LBB8_37:
	s_mov_b32 s0, 0
.LBB8_38:
	s_mov_b32 s1, exec_lo
	v_cmpx_gt_u32_e64 s3, v5
	s_cbranch_execz .LBB8_40
; %bb.39:
	v_lshlrev_b32_e32 v2, 3, v9
	ds_load_b64 v[3:4], v2
	v_mov_b32_e32 v2, 0
	s_delay_alu instid0(VALU_DEP_1) | instskip(NEXT) | instid1(VALU_DEP_1)
	v_lshlrev_b64 v[9:10], 3, v[1:2]
	v_add_co_u32 v9, vcc_lo, s10, v9
	s_delay_alu instid0(VALU_DEP_2)
	v_add_co_ci_u32_e32 v10, vcc_lo, s11, v10, vcc_lo
	s_waitcnt lgkmcnt(0)
	global_store_b64 v[9:10], v[3:4], off
.LBB8_40:
	s_or_b32 exec_lo, exec_lo, s1
	v_or_b32_e32 v2, 1, v5
	s_mov_b32 s1, exec_lo
	s_delay_alu instid0(VALU_DEP_1)
	v_cmpx_gt_u32_e64 s3, v2
; %bb.41:
	v_mov_b32_e32 v2, 0
	s_or_b32 s0, s0, exec_lo
; %bb.42:
	s_or_b32 exec_lo, exec_lo, s1
.LBB8_43:
	s_and_saveexec_b32 s1, s0
	s_cbranch_execz .LBB8_45
; %bb.44:
	v_lshlrev_b32_e32 v3, 3, v8
	v_lshlrev_b64 v[1:2], 3, v[1:2]
	ds_load_b64 v[3:4], v3
	v_add_co_u32 v1, vcc_lo, s10, v1
	v_add_co_ci_u32_e32 v2, vcc_lo, s11, v2, vcc_lo
	s_waitcnt lgkmcnt(0)
	global_store_b64 v[1:2], v[3:4], off offset:8
.LBB8_45:
	s_or_b32 exec_lo, exec_lo, s1
	v_lshrrev_b32_e32 v1, 3, v0
	v_lshrrev_b32_e32 v2, 4, v0
	;; [unrolled: 1-line block ×3, first 2 shown]
	s_mov_b32 s13, 0
	s_waitcnt_vscnt null, 0x0
	v_and_b32_e32 v1, 60, v1
	s_lshl_b64 s[0:1], s[12:13], 1
	v_and_b32_e32 v2, 28, v2
	v_and_b32_e32 v4, 60, v3
	s_add_u32 s0, s6, s0
	v_lshl_add_u32 v1, v5, 1, v1
	s_barrier
	buffer_gl0_inv
	s_barrier
	buffer_gl0_inv
	s_addc_u32 s1, s7, s1
	ds_store_b32 v1, v6
	v_add_co_u32 v1, s0, s0, v5
	v_add_nc_u32_e32 v3, v5, v2
	v_add_nc_u32_e32 v6, v5, v4
	v_add_co_ci_u32_e64 v2, null, s1, 0, s0
	s_and_b32 vcc_lo, exec_lo, s18
	s_waitcnt lgkmcnt(0)
	s_cbranch_vccz .LBB8_47
; %bb.46:
	s_barrier
	buffer_gl0_inv
	ds_load_u16 v5, v3
	ds_load_u16 v4, v6 offset:1024
	s_mov_b32 s13, -1
	s_waitcnt lgkmcnt(1)
	global_store_b16 v[1:2], v5, off
	s_cbranch_execz .LBB8_48
	s_branch .LBB8_51
.LBB8_47:
                                        ; implicit-def: $vgpr4
.LBB8_48:
	s_waitcnt lgkmcnt(0)
	s_waitcnt_vscnt null, 0x0
	s_barrier
	buffer_gl0_inv
	ds_load_u16 v4, v6 offset:1024
	s_sub_i32 s0, s16, s12
	s_mov_b32 s1, exec_lo
	v_cmpx_gt_u32_e64 s0, v0
	s_cbranch_execz .LBB8_50
; %bb.49:
	ds_load_u16 v0, v3
	s_waitcnt lgkmcnt(0)
	global_store_b16 v[1:2], v0, off
.LBB8_50:
	s_or_b32 exec_lo, exec_lo, s1
	v_cmp_gt_u32_e64 s13, s0, v7
.LBB8_51:
	s_delay_alu instid0(VALU_DEP_1)
	s_and_saveexec_b32 s0, s13
	s_cbranch_execz .LBB8_53
; %bb.52:
	s_waitcnt lgkmcnt(0)
	global_store_b16 v[1:2], v4, off offset:1024
.LBB8_53:
	s_nop 0
	s_sendmsg sendmsg(MSG_DEALLOC_VGPRS)
	s_endpgm
.LBB8_54:
	v_subrev_nc_u32_e32 v3, s17, v0
	s_mov_b32 s13, exec_lo
                                        ; implicit-def: $vgpr1_vgpr2
	s_delay_alu instid0(VALU_DEP_1)
	v_cmpx_gt_u32_e64 s25, v3
	s_xor_b32 s13, exec_lo, s13
; %bb.55:
	v_mov_b32_e32 v4, 0
	s_mov_b32 s1, exec_lo
	s_delay_alu instid0(VALU_DEP_1) | instskip(NEXT) | instid1(VALU_DEP_1)
	v_lshlrev_b64 v[1:2], 3, v[3:4]
	v_add_co_u32 v1, vcc_lo, s8, v1
	s_delay_alu instid0(VALU_DEP_2)
	v_add_co_ci_u32_e32 v2, vcc_lo, s9, v2, vcc_lo
; %bb.56:
	s_or_b32 exec_lo, exec_lo, s13
	s_delay_alu instid0(SALU_CYCLE_1)
	s_and_b32 s1, s1, exec_lo
	s_and_not1_saveexec_b32 s0, s0
	s_cbranch_execz .LBB8_24
.LBB8_57:
	v_lshlrev_b32_e32 v1, 3, v0
	s_or_b32 s1, s1, exec_lo
	s_delay_alu instid0(VALU_DEP_1) | instskip(NEXT) | instid1(VALU_DEP_1)
	v_add_co_u32 v1, s13, s2, v1
	v_add_co_ci_u32_e64 v2, null, s4, 0, s13
	s_or_b32 exec_lo, exec_lo, s0
	s_and_saveexec_b32 s0, s1
	s_cbranch_execnz .LBB8_25
	s_branch .LBB8_26
	.section	.rodata,"a",@progbits
	.p2align	6, 0x0
	.amdhsa_kernel _ZN7rocprim17ROCPRIM_304000_NS6detail35device_block_merge_mergepath_kernelINS1_37wrapped_merge_sort_block_merge_configINS0_14default_configEtN2at4cuda3cub6detail10OpaqueTypeILi8EEEEEPtSC_PSA_SD_jNS1_19radix_merge_compareILb1ELb1EtNS0_19identity_decomposerEEEEEvT0_T1_T2_T3_T4_SL_jT5_PKSL_NS1_7vsmem_tE
		.amdhsa_group_segment_fixed_size 8208
		.amdhsa_private_segment_fixed_size 0
		.amdhsa_kernarg_size 320
		.amdhsa_user_sgpr_count 13
		.amdhsa_user_sgpr_dispatch_ptr 0
		.amdhsa_user_sgpr_queue_ptr 0
		.amdhsa_user_sgpr_kernarg_segment_ptr 1
		.amdhsa_user_sgpr_dispatch_id 0
		.amdhsa_user_sgpr_private_segment_size 0
		.amdhsa_wavefront_size32 1
		.amdhsa_uses_dynamic_stack 0
		.amdhsa_enable_private_segment 0
		.amdhsa_system_sgpr_workgroup_id_x 1
		.amdhsa_system_sgpr_workgroup_id_y 1
		.amdhsa_system_sgpr_workgroup_id_z 1
		.amdhsa_system_sgpr_workgroup_info 0
		.amdhsa_system_vgpr_workitem_id 0
		.amdhsa_next_free_vgpr 15
		.amdhsa_next_free_sgpr 31
		.amdhsa_reserve_vcc 1
		.amdhsa_float_round_mode_32 0
		.amdhsa_float_round_mode_16_64 0
		.amdhsa_float_denorm_mode_32 3
		.amdhsa_float_denorm_mode_16_64 3
		.amdhsa_dx10_clamp 1
		.amdhsa_ieee_mode 1
		.amdhsa_fp16_overflow 0
		.amdhsa_workgroup_processor_mode 1
		.amdhsa_memory_ordered 1
		.amdhsa_forward_progress 0
		.amdhsa_shared_vgpr_count 0
		.amdhsa_exception_fp_ieee_invalid_op 0
		.amdhsa_exception_fp_denorm_src 0
		.amdhsa_exception_fp_ieee_div_zero 0
		.amdhsa_exception_fp_ieee_overflow 0
		.amdhsa_exception_fp_ieee_underflow 0
		.amdhsa_exception_fp_ieee_inexact 0
		.amdhsa_exception_int_div_zero 0
	.end_amdhsa_kernel
	.section	.text._ZN7rocprim17ROCPRIM_304000_NS6detail35device_block_merge_mergepath_kernelINS1_37wrapped_merge_sort_block_merge_configINS0_14default_configEtN2at4cuda3cub6detail10OpaqueTypeILi8EEEEEPtSC_PSA_SD_jNS1_19radix_merge_compareILb1ELb1EtNS0_19identity_decomposerEEEEEvT0_T1_T2_T3_T4_SL_jT5_PKSL_NS1_7vsmem_tE,"axG",@progbits,_ZN7rocprim17ROCPRIM_304000_NS6detail35device_block_merge_mergepath_kernelINS1_37wrapped_merge_sort_block_merge_configINS0_14default_configEtN2at4cuda3cub6detail10OpaqueTypeILi8EEEEEPtSC_PSA_SD_jNS1_19radix_merge_compareILb1ELb1EtNS0_19identity_decomposerEEEEEvT0_T1_T2_T3_T4_SL_jT5_PKSL_NS1_7vsmem_tE,comdat
.Lfunc_end8:
	.size	_ZN7rocprim17ROCPRIM_304000_NS6detail35device_block_merge_mergepath_kernelINS1_37wrapped_merge_sort_block_merge_configINS0_14default_configEtN2at4cuda3cub6detail10OpaqueTypeILi8EEEEEPtSC_PSA_SD_jNS1_19radix_merge_compareILb1ELb1EtNS0_19identity_decomposerEEEEEvT0_T1_T2_T3_T4_SL_jT5_PKSL_NS1_7vsmem_tE, .Lfunc_end8-_ZN7rocprim17ROCPRIM_304000_NS6detail35device_block_merge_mergepath_kernelINS1_37wrapped_merge_sort_block_merge_configINS0_14default_configEtN2at4cuda3cub6detail10OpaqueTypeILi8EEEEEPtSC_PSA_SD_jNS1_19radix_merge_compareILb1ELb1EtNS0_19identity_decomposerEEEEEvT0_T1_T2_T3_T4_SL_jT5_PKSL_NS1_7vsmem_tE
                                        ; -- End function
	.section	.AMDGPU.csdata,"",@progbits
; Kernel info:
; codeLenInByte = 2468
; NumSgprs: 33
; NumVgprs: 15
; ScratchSize: 0
; MemoryBound: 1
; FloatMode: 240
; IeeeMode: 1
; LDSByteSize: 8208 bytes/workgroup (compile time only)
; SGPRBlocks: 4
; VGPRBlocks: 1
; NumSGPRsForWavesPerEU: 33
; NumVGPRsForWavesPerEU: 15
; Occupancy: 16
; WaveLimiterHint : 1
; COMPUTE_PGM_RSRC2:SCRATCH_EN: 0
; COMPUTE_PGM_RSRC2:USER_SGPR: 13
; COMPUTE_PGM_RSRC2:TRAP_HANDLER: 0
; COMPUTE_PGM_RSRC2:TGID_X_EN: 1
; COMPUTE_PGM_RSRC2:TGID_Y_EN: 1
; COMPUTE_PGM_RSRC2:TGID_Z_EN: 1
; COMPUTE_PGM_RSRC2:TIDIG_COMP_CNT: 0
	.section	.text._ZN7rocprim17ROCPRIM_304000_NS6detail33device_block_merge_oddeven_kernelINS1_37wrapped_merge_sort_block_merge_configINS0_14default_configEtN2at4cuda3cub6detail10OpaqueTypeILi8EEEEEPtSC_PSA_SD_jNS1_19radix_merge_compareILb1ELb1EtNS0_19identity_decomposerEEEEEvT0_T1_T2_T3_T4_SL_T5_,"axG",@progbits,_ZN7rocprim17ROCPRIM_304000_NS6detail33device_block_merge_oddeven_kernelINS1_37wrapped_merge_sort_block_merge_configINS0_14default_configEtN2at4cuda3cub6detail10OpaqueTypeILi8EEEEEPtSC_PSA_SD_jNS1_19radix_merge_compareILb1ELb1EtNS0_19identity_decomposerEEEEEvT0_T1_T2_T3_T4_SL_T5_,comdat
	.protected	_ZN7rocprim17ROCPRIM_304000_NS6detail33device_block_merge_oddeven_kernelINS1_37wrapped_merge_sort_block_merge_configINS0_14default_configEtN2at4cuda3cub6detail10OpaqueTypeILi8EEEEEPtSC_PSA_SD_jNS1_19radix_merge_compareILb1ELb1EtNS0_19identity_decomposerEEEEEvT0_T1_T2_T3_T4_SL_T5_ ; -- Begin function _ZN7rocprim17ROCPRIM_304000_NS6detail33device_block_merge_oddeven_kernelINS1_37wrapped_merge_sort_block_merge_configINS0_14default_configEtN2at4cuda3cub6detail10OpaqueTypeILi8EEEEEPtSC_PSA_SD_jNS1_19radix_merge_compareILb1ELb1EtNS0_19identity_decomposerEEEEEvT0_T1_T2_T3_T4_SL_T5_
	.globl	_ZN7rocprim17ROCPRIM_304000_NS6detail33device_block_merge_oddeven_kernelINS1_37wrapped_merge_sort_block_merge_configINS0_14default_configEtN2at4cuda3cub6detail10OpaqueTypeILi8EEEEEPtSC_PSA_SD_jNS1_19radix_merge_compareILb1ELb1EtNS0_19identity_decomposerEEEEEvT0_T1_T2_T3_T4_SL_T5_
	.p2align	8
	.type	_ZN7rocprim17ROCPRIM_304000_NS6detail33device_block_merge_oddeven_kernelINS1_37wrapped_merge_sort_block_merge_configINS0_14default_configEtN2at4cuda3cub6detail10OpaqueTypeILi8EEEEEPtSC_PSA_SD_jNS1_19radix_merge_compareILb1ELb1EtNS0_19identity_decomposerEEEEEvT0_T1_T2_T3_T4_SL_T5_,@function
_ZN7rocprim17ROCPRIM_304000_NS6detail33device_block_merge_oddeven_kernelINS1_37wrapped_merge_sort_block_merge_configINS0_14default_configEtN2at4cuda3cub6detail10OpaqueTypeILi8EEEEEPtSC_PSA_SD_jNS1_19radix_merge_compareILb1ELb1EtNS0_19identity_decomposerEEEEEvT0_T1_T2_T3_T4_SL_T5_: ; @_ZN7rocprim17ROCPRIM_304000_NS6detail33device_block_merge_oddeven_kernelINS1_37wrapped_merge_sort_block_merge_configINS0_14default_configEtN2at4cuda3cub6detail10OpaqueTypeILi8EEEEEPtSC_PSA_SD_jNS1_19radix_merge_compareILb1ELb1EtNS0_19identity_decomposerEEEEEvT0_T1_T2_T3_T4_SL_T5_
; %bb.0:
	s_load_b128 s[16:19], s[0:1], 0x20
	s_waitcnt lgkmcnt(0)
	s_lshr_b32 s2, s16, 8
	s_delay_alu instid0(SALU_CYCLE_1) | instskip(SKIP_4) | instid1(SALU_CYCLE_1)
	s_cmp_lg_u32 s15, s2
	s_cselect_b32 s4, -1, 0
	s_cmp_eq_u32 s15, s2
	s_cselect_b32 s3, -1, 0
	s_lshl_b32 s12, s15, 8
	s_sub_i32 s2, s16, s12
	s_delay_alu instid0(SALU_CYCLE_1) | instskip(NEXT) | instid1(VALU_DEP_1)
	v_cmp_gt_u32_e64 s2, s2, v0
	s_or_b32 s4, s4, s2
	s_delay_alu instid0(SALU_CYCLE_1)
	s_and_saveexec_b32 s5, s4
	s_cbranch_execz .LBB9_26
; %bb.1:
	s_load_b256 s[4:11], s[0:1], 0x0
	s_mov_b32 s13, 0
	v_lshlrev_b32_e32 v1, 3, v0
	s_lshl_b64 s[0:1], s[12:13], 1
	v_lshlrev_b32_e32 v3, 1, v0
	v_add_nc_u32_e32 v5, s12, v0
	s_waitcnt lgkmcnt(0)
	s_add_u32 s0, s4, s0
	s_addc_u32 s1, s5, s1
	s_lshl_b64 s[20:21], s[12:13], 3
	s_delay_alu instid0(SALU_CYCLE_1) | instskip(SKIP_4) | instid1(SALU_CYCLE_1)
	s_add_u32 s8, s8, s20
	s_addc_u32 s9, s9, s21
	global_load_b64 v[1:2], v1, s[8:9]
	global_load_u16 v7, v3, s[0:1]
	s_lshr_b32 s0, s17, 8
	s_sub_i32 s1, 0, s0
	s_delay_alu instid0(SALU_CYCLE_1) | instskip(NEXT) | instid1(SALU_CYCLE_1)
	s_and_b32 s1, s15, s1
	s_and_b32 s0, s1, s0
	s_lshl_b32 s9, s1, 8
	s_sub_i32 s1, 0, s17
	s_cmp_eq_u32 s0, 0
	s_cselect_b32 s0, -1, 0
	s_delay_alu instid0(SALU_CYCLE_1) | instskip(SKIP_1) | instid1(SALU_CYCLE_1)
	s_and_b32 s8, s0, exec_lo
	s_cselect_b32 s1, s17, s1
	s_add_i32 s1, s1, s9
	s_delay_alu instid0(SALU_CYCLE_1)
	s_cmp_lt_u32 s1, s16
	s_cbranch_scc1 .LBB9_6
; %bb.2:
	s_and_b32 vcc_lo, exec_lo, s3
	s_cbranch_vccz .LBB9_7
; %bb.3:
	s_mov_b32 s8, 0
	s_mov_b32 s12, exec_lo
                                        ; implicit-def: $vgpr3_vgpr4
	v_cmpx_gt_u32_e64 s16, v5
	s_cbranch_execz .LBB9_5
; %bb.4:
	v_mov_b32_e32 v6, 0
	s_mov_b32 s13, exec_lo
	s_delay_alu instid0(VALU_DEP_1) | instskip(SKIP_1) | instid1(VALU_DEP_2)
	v_lshlrev_b64 v[3:4], 1, v[5:6]
	v_lshlrev_b64 v[8:9], 3, v[5:6]
	v_add_co_u32 v10, vcc_lo, s6, v3
	s_delay_alu instid0(VALU_DEP_3) | instskip(NEXT) | instid1(VALU_DEP_3)
	v_add_co_ci_u32_e32 v11, vcc_lo, s7, v4, vcc_lo
	v_add_co_u32 v3, vcc_lo, s10, v8
	s_delay_alu instid0(VALU_DEP_4)
	v_add_co_ci_u32_e32 v4, vcc_lo, s11, v9, vcc_lo
	s_waitcnt vmcnt(0)
	global_store_b16 v[10:11], v7, off
.LBB9_5:
	s_or_b32 exec_lo, exec_lo, s12
	s_delay_alu instid0(SALU_CYCLE_1)
	s_and_b32 vcc_lo, exec_lo, s8
	s_cbranch_vccnz .LBB9_8
	s_branch .LBB9_9
.LBB9_6:
                                        ; implicit-def: $vgpr3_vgpr4
	s_cbranch_execnz .LBB9_10
	s_branch .LBB9_24
.LBB9_7:
                                        ; implicit-def: $vgpr3_vgpr4
	s_cbranch_execz .LBB9_9
.LBB9_8:
	v_mov_b32_e32 v6, 0
	s_or_b32 s13, s13, exec_lo
	s_delay_alu instid0(VALU_DEP_1) | instskip(SKIP_1) | instid1(VALU_DEP_2)
	v_lshlrev_b64 v[3:4], 1, v[5:6]
	v_lshlrev_b64 v[8:9], 3, v[5:6]
	v_add_co_u32 v10, vcc_lo, s6, v3
	s_delay_alu instid0(VALU_DEP_3) | instskip(NEXT) | instid1(VALU_DEP_3)
	v_add_co_ci_u32_e32 v11, vcc_lo, s7, v4, vcc_lo
	v_add_co_u32 v3, vcc_lo, s10, v8
	s_delay_alu instid0(VALU_DEP_4)
	v_add_co_ci_u32_e32 v4, vcc_lo, s11, v9, vcc_lo
	s_waitcnt vmcnt(0)
	global_store_b16 v[10:11], v7, off
.LBB9_9:
	s_branch .LBB9_24
.LBB9_10:
	s_min_u32 s8, s1, s16
	s_and_b32 vcc_lo, exec_lo, s3
	s_add_i32 s12, s9, s8
	s_min_u32 s9, s9, s8
	v_subrev_nc_u32_e32 v0, s12, v5
	s_add_i32 s12, s8, s17
	s_delay_alu instid0(SALU_CYCLE_1) | instskip(NEXT) | instid1(VALU_DEP_1)
	s_min_u32 s3, s12, s16
	v_add_nc_u32_e32 v0, s9, v0
	s_cbranch_vccz .LBB9_18
; %bb.11:
                                        ; implicit-def: $vgpr3_vgpr4
	s_and_saveexec_b32 s9, s2
	s_cbranch_execz .LBB9_17
; %bb.12:
	v_mov_b32_e32 v3, s8
	s_cmp_ge_u32 s1, s3
	s_cbranch_scc1 .LBB9_16
; %bb.13:
	s_waitcnt vmcnt(0)
	v_dual_mov_b32 v5, s3 :: v_dual_and_b32 v4, s18, v7
	v_mov_b32_e32 v3, s8
	s_mov_b32 s2, 0
	.p2align	6
.LBB9_14:                               ; =>This Inner Loop Header: Depth=1
	s_delay_alu instid0(VALU_DEP_1) | instskip(NEXT) | instid1(VALU_DEP_1)
	v_add_nc_u32_e32 v6, v3, v5
	v_and_b32_e32 v8, -2, v6
	v_lshrrev_b32_e32 v6, 1, v6
	global_load_u16 v8, v8, s[4:5]
	s_waitcnt vmcnt(0)
	v_and_b32_e32 v8, s18, v8
	s_delay_alu instid0(VALU_DEP_1) | instskip(SKIP_3) | instid1(VALU_DEP_1)
	v_cmp_gt_u16_e32 vcc_lo, v8, v4
	v_cndmask_b32_e64 v9, 0, 1, vcc_lo
	v_cmp_le_u16_e32 vcc_lo, v4, v8
	v_cndmask_b32_e64 v8, 0, 1, vcc_lo
	v_cndmask_b32_e64 v8, v8, v9, s0
	v_add_nc_u32_e32 v9, 1, v6
	s_delay_alu instid0(VALU_DEP_2) | instskip(NEXT) | instid1(VALU_DEP_1)
	v_and_b32_e32 v8, 1, v8
	v_cmp_eq_u32_e32 vcc_lo, 1, v8
	s_delay_alu instid0(VALU_DEP_3) | instskip(SKIP_1) | instid1(VALU_DEP_1)
	v_cndmask_b32_e32 v3, v3, v9, vcc_lo
	v_cndmask_b32_e32 v5, v6, v5, vcc_lo
	v_cmp_ge_u32_e32 vcc_lo, v3, v5
	s_or_b32 s2, vcc_lo, s2
	s_delay_alu instid0(SALU_CYCLE_1)
	s_and_not1_b32 exec_lo, exec_lo, s2
	s_cbranch_execnz .LBB9_14
; %bb.15:
	s_or_b32 exec_lo, exec_lo, s2
.LBB9_16:
	s_delay_alu instid0(VALU_DEP_1) | instskip(SKIP_1) | instid1(VALU_DEP_1)
	v_dual_mov_b32 v4, 0 :: v_dual_add_nc_u32 v3, v3, v0
	s_or_b32 s13, s13, exec_lo
	v_lshlrev_b64 v[5:6], 1, v[3:4]
	v_lshlrev_b64 v[3:4], 3, v[3:4]
	s_delay_alu instid0(VALU_DEP_2) | instskip(NEXT) | instid1(VALU_DEP_3)
	v_add_co_u32 v5, vcc_lo, s6, v5
	v_add_co_ci_u32_e32 v6, vcc_lo, s7, v6, vcc_lo
	s_delay_alu instid0(VALU_DEP_3) | instskip(NEXT) | instid1(VALU_DEP_4)
	v_add_co_u32 v3, vcc_lo, s10, v3
	v_add_co_ci_u32_e32 v4, vcc_lo, s11, v4, vcc_lo
	s_waitcnt vmcnt(0)
	global_store_b16 v[5:6], v7, off
.LBB9_17:
	s_or_b32 exec_lo, exec_lo, s9
	s_branch .LBB9_24
.LBB9_18:
                                        ; implicit-def: $vgpr3_vgpr4
	s_cbranch_execz .LBB9_24
; %bb.19:
	v_mov_b32_e32 v3, s8
	s_cmp_ge_u32 s1, s3
	s_cbranch_scc1 .LBB9_23
; %bb.20:
	s_waitcnt vmcnt(0)
	v_dual_mov_b32 v5, s3 :: v_dual_and_b32 v4, s18, v7
	v_mov_b32_e32 v3, s8
	s_mov_b32 s1, 0
	.p2align	6
.LBB9_21:                               ; =>This Inner Loop Header: Depth=1
	s_delay_alu instid0(VALU_DEP_1) | instskip(NEXT) | instid1(VALU_DEP_1)
	v_add_nc_u32_e32 v6, v3, v5
	v_and_b32_e32 v8, -2, v6
	v_lshrrev_b32_e32 v6, 1, v6
	global_load_u16 v8, v8, s[4:5]
	s_waitcnt vmcnt(0)
	v_and_b32_e32 v8, s18, v8
	s_delay_alu instid0(VALU_DEP_1) | instskip(SKIP_3) | instid1(VALU_DEP_1)
	v_cmp_gt_u16_e32 vcc_lo, v8, v4
	v_cndmask_b32_e64 v9, 0, 1, vcc_lo
	v_cmp_le_u16_e32 vcc_lo, v4, v8
	v_cndmask_b32_e64 v8, 0, 1, vcc_lo
	v_cndmask_b32_e64 v8, v8, v9, s0
	v_add_nc_u32_e32 v9, 1, v6
	s_delay_alu instid0(VALU_DEP_2) | instskip(NEXT) | instid1(VALU_DEP_1)
	v_and_b32_e32 v8, 1, v8
	v_cmp_eq_u32_e32 vcc_lo, 1, v8
	s_delay_alu instid0(VALU_DEP_3) | instskip(SKIP_1) | instid1(VALU_DEP_1)
	v_cndmask_b32_e32 v3, v3, v9, vcc_lo
	v_cndmask_b32_e32 v5, v6, v5, vcc_lo
	v_cmp_ge_u32_e32 vcc_lo, v3, v5
	s_or_b32 s1, vcc_lo, s1
	s_delay_alu instid0(SALU_CYCLE_1)
	s_and_not1_b32 exec_lo, exec_lo, s1
	s_cbranch_execnz .LBB9_21
; %bb.22:
	s_or_b32 exec_lo, exec_lo, s1
.LBB9_23:
	s_delay_alu instid0(VALU_DEP_1) | instskip(SKIP_1) | instid1(VALU_DEP_1)
	v_dual_mov_b32 v4, 0 :: v_dual_add_nc_u32 v3, v3, v0
	s_mov_b32 s13, -1
	v_lshlrev_b64 v[5:6], 1, v[3:4]
	v_lshlrev_b64 v[3:4], 3, v[3:4]
	s_delay_alu instid0(VALU_DEP_2) | instskip(NEXT) | instid1(VALU_DEP_3)
	v_add_co_u32 v5, vcc_lo, s6, v5
	v_add_co_ci_u32_e32 v6, vcc_lo, s7, v6, vcc_lo
	s_delay_alu instid0(VALU_DEP_3) | instskip(NEXT) | instid1(VALU_DEP_4)
	v_add_co_u32 v3, vcc_lo, s10, v3
	v_add_co_ci_u32_e32 v4, vcc_lo, s11, v4, vcc_lo
	s_waitcnt vmcnt(0)
	global_store_b16 v[5:6], v7, off
.LBB9_24:
	s_and_b32 exec_lo, exec_lo, s13
	s_cbranch_execz .LBB9_26
; %bb.25:
	s_waitcnt vmcnt(1)
	global_store_b64 v[3:4], v[1:2], off
.LBB9_26:
	s_nop 0
	s_sendmsg sendmsg(MSG_DEALLOC_VGPRS)
	s_endpgm
	.section	.rodata,"a",@progbits
	.p2align	6, 0x0
	.amdhsa_kernel _ZN7rocprim17ROCPRIM_304000_NS6detail33device_block_merge_oddeven_kernelINS1_37wrapped_merge_sort_block_merge_configINS0_14default_configEtN2at4cuda3cub6detail10OpaqueTypeILi8EEEEEPtSC_PSA_SD_jNS1_19radix_merge_compareILb1ELb1EtNS0_19identity_decomposerEEEEEvT0_T1_T2_T3_T4_SL_T5_
		.amdhsa_group_segment_fixed_size 0
		.amdhsa_private_segment_fixed_size 0
		.amdhsa_kernarg_size 44
		.amdhsa_user_sgpr_count 15
		.amdhsa_user_sgpr_dispatch_ptr 0
		.amdhsa_user_sgpr_queue_ptr 0
		.amdhsa_user_sgpr_kernarg_segment_ptr 1
		.amdhsa_user_sgpr_dispatch_id 0
		.amdhsa_user_sgpr_private_segment_size 0
		.amdhsa_wavefront_size32 1
		.amdhsa_uses_dynamic_stack 0
		.amdhsa_enable_private_segment 0
		.amdhsa_system_sgpr_workgroup_id_x 1
		.amdhsa_system_sgpr_workgroup_id_y 0
		.amdhsa_system_sgpr_workgroup_id_z 0
		.amdhsa_system_sgpr_workgroup_info 0
		.amdhsa_system_vgpr_workitem_id 0
		.amdhsa_next_free_vgpr 12
		.amdhsa_next_free_sgpr 22
		.amdhsa_reserve_vcc 1
		.amdhsa_float_round_mode_32 0
		.amdhsa_float_round_mode_16_64 0
		.amdhsa_float_denorm_mode_32 3
		.amdhsa_float_denorm_mode_16_64 3
		.amdhsa_dx10_clamp 1
		.amdhsa_ieee_mode 1
		.amdhsa_fp16_overflow 0
		.amdhsa_workgroup_processor_mode 1
		.amdhsa_memory_ordered 1
		.amdhsa_forward_progress 0
		.amdhsa_shared_vgpr_count 0
		.amdhsa_exception_fp_ieee_invalid_op 0
		.amdhsa_exception_fp_denorm_src 0
		.amdhsa_exception_fp_ieee_div_zero 0
		.amdhsa_exception_fp_ieee_overflow 0
		.amdhsa_exception_fp_ieee_underflow 0
		.amdhsa_exception_fp_ieee_inexact 0
		.amdhsa_exception_int_div_zero 0
	.end_amdhsa_kernel
	.section	.text._ZN7rocprim17ROCPRIM_304000_NS6detail33device_block_merge_oddeven_kernelINS1_37wrapped_merge_sort_block_merge_configINS0_14default_configEtN2at4cuda3cub6detail10OpaqueTypeILi8EEEEEPtSC_PSA_SD_jNS1_19radix_merge_compareILb1ELb1EtNS0_19identity_decomposerEEEEEvT0_T1_T2_T3_T4_SL_T5_,"axG",@progbits,_ZN7rocprim17ROCPRIM_304000_NS6detail33device_block_merge_oddeven_kernelINS1_37wrapped_merge_sort_block_merge_configINS0_14default_configEtN2at4cuda3cub6detail10OpaqueTypeILi8EEEEEPtSC_PSA_SD_jNS1_19radix_merge_compareILb1ELb1EtNS0_19identity_decomposerEEEEEvT0_T1_T2_T3_T4_SL_T5_,comdat
.Lfunc_end9:
	.size	_ZN7rocprim17ROCPRIM_304000_NS6detail33device_block_merge_oddeven_kernelINS1_37wrapped_merge_sort_block_merge_configINS0_14default_configEtN2at4cuda3cub6detail10OpaqueTypeILi8EEEEEPtSC_PSA_SD_jNS1_19radix_merge_compareILb1ELb1EtNS0_19identity_decomposerEEEEEvT0_T1_T2_T3_T4_SL_T5_, .Lfunc_end9-_ZN7rocprim17ROCPRIM_304000_NS6detail33device_block_merge_oddeven_kernelINS1_37wrapped_merge_sort_block_merge_configINS0_14default_configEtN2at4cuda3cub6detail10OpaqueTypeILi8EEEEEPtSC_PSA_SD_jNS1_19radix_merge_compareILb1ELb1EtNS0_19identity_decomposerEEEEEvT0_T1_T2_T3_T4_SL_T5_
                                        ; -- End function
	.section	.AMDGPU.csdata,"",@progbits
; Kernel info:
; codeLenInByte = 964
; NumSgprs: 24
; NumVgprs: 12
; ScratchSize: 0
; MemoryBound: 0
; FloatMode: 240
; IeeeMode: 1
; LDSByteSize: 0 bytes/workgroup (compile time only)
; SGPRBlocks: 2
; VGPRBlocks: 1
; NumSGPRsForWavesPerEU: 24
; NumVGPRsForWavesPerEU: 12
; Occupancy: 16
; WaveLimiterHint : 0
; COMPUTE_PGM_RSRC2:SCRATCH_EN: 0
; COMPUTE_PGM_RSRC2:USER_SGPR: 15
; COMPUTE_PGM_RSRC2:TRAP_HANDLER: 0
; COMPUTE_PGM_RSRC2:TGID_X_EN: 1
; COMPUTE_PGM_RSRC2:TGID_Y_EN: 0
; COMPUTE_PGM_RSRC2:TGID_Z_EN: 0
; COMPUTE_PGM_RSRC2:TIDIG_COMP_CNT: 0
	.section	.text._ZN7rocprim17ROCPRIM_304000_NS6detail26onesweep_histograms_kernelINS1_34wrapped_radix_sort_onesweep_configINS0_14default_configEtN2at4cuda3cub6detail10OpaqueTypeILi8EEEEELb1EPKtmNS0_19identity_decomposerEEEvT1_PT2_SG_SG_T3_jj,"axG",@progbits,_ZN7rocprim17ROCPRIM_304000_NS6detail26onesweep_histograms_kernelINS1_34wrapped_radix_sort_onesweep_configINS0_14default_configEtN2at4cuda3cub6detail10OpaqueTypeILi8EEEEELb1EPKtmNS0_19identity_decomposerEEEvT1_PT2_SG_SG_T3_jj,comdat
	.protected	_ZN7rocprim17ROCPRIM_304000_NS6detail26onesweep_histograms_kernelINS1_34wrapped_radix_sort_onesweep_configINS0_14default_configEtN2at4cuda3cub6detail10OpaqueTypeILi8EEEEELb1EPKtmNS0_19identity_decomposerEEEvT1_PT2_SG_SG_T3_jj ; -- Begin function _ZN7rocprim17ROCPRIM_304000_NS6detail26onesweep_histograms_kernelINS1_34wrapped_radix_sort_onesweep_configINS0_14default_configEtN2at4cuda3cub6detail10OpaqueTypeILi8EEEEELb1EPKtmNS0_19identity_decomposerEEEvT1_PT2_SG_SG_T3_jj
	.globl	_ZN7rocprim17ROCPRIM_304000_NS6detail26onesweep_histograms_kernelINS1_34wrapped_radix_sort_onesweep_configINS0_14default_configEtN2at4cuda3cub6detail10OpaqueTypeILi8EEEEELb1EPKtmNS0_19identity_decomposerEEEvT1_PT2_SG_SG_T3_jj
	.p2align	8
	.type	_ZN7rocprim17ROCPRIM_304000_NS6detail26onesweep_histograms_kernelINS1_34wrapped_radix_sort_onesweep_configINS0_14default_configEtN2at4cuda3cub6detail10OpaqueTypeILi8EEEEELb1EPKtmNS0_19identity_decomposerEEEvT1_PT2_SG_SG_T3_jj,@function
_ZN7rocprim17ROCPRIM_304000_NS6detail26onesweep_histograms_kernelINS1_34wrapped_radix_sort_onesweep_configINS0_14default_configEtN2at4cuda3cub6detail10OpaqueTypeILi8EEEEELb1EPKtmNS0_19identity_decomposerEEEvT1_PT2_SG_SG_T3_jj: ; @_ZN7rocprim17ROCPRIM_304000_NS6detail26onesweep_histograms_kernelINS1_34wrapped_radix_sort_onesweep_configINS0_14default_configEtN2at4cuda3cub6detail10OpaqueTypeILi8EEEEELb1EPKtmNS0_19identity_decomposerEEEvT1_PT2_SG_SG_T3_jj
; %bb.0:
	s_clause 0x1
	s_load_b256 s[4:11], s[0:1], 0x0
	s_load_b64 s[12:13], s[0:1], 0x24
	s_mov_b32 s2, s15
	s_mov_b32 s3, 0
	v_lshlrev_b32_e32 v5, 1, v0
	s_lshl_b64 s[0:1], s[2:3], 13
	s_waitcnt lgkmcnt(0)
	v_cmp_ge_u64_e64 s9, s[2:3], s[10:11]
	s_add_u32 s4, s4, s0
	s_addc_u32 s5, s5, s1
	s_mov_b32 s0, -1
	s_delay_alu instid0(VALU_DEP_1)
	s_and_b32 vcc_lo, exec_lo, s9
	s_cbranch_vccz .LBB10_34
; %bb.1:
	s_lshl_b32 s0, s10, 12
                                        ; implicit-def: $vgpr1_vgpr2
	s_delay_alu instid0(SALU_CYCLE_1) | instskip(SKIP_1) | instid1(VALU_DEP_1)
	s_sub_i32 s3, s8, s0
	v_add_co_u32 v3, s0, s4, v5
	v_add_co_ci_u32_e64 v4, null, s5, 0, s0
	v_cmp_gt_u32_e64 s2, s3, v0
	s_delay_alu instid0(VALU_DEP_1)
	s_and_saveexec_b32 s0, s2
	s_cbranch_execz .LBB10_3
; %bb.2:
	global_load_d16_b16 v1, v[3:4], off
.LBB10_3:
	s_or_b32 exec_lo, exec_lo, s0
	v_or_b32_e32 v6, 0x400, v0
	s_delay_alu instid0(VALU_DEP_1) | instskip(NEXT) | instid1(VALU_DEP_1)
	v_cmp_gt_u32_e64 s1, s3, v6
	s_and_saveexec_b32 s0, s1
	s_cbranch_execz .LBB10_5
; %bb.4:
	global_load_d16_hi_b16 v1, v[3:4], off offset:2048
.LBB10_5:
	s_or_b32 exec_lo, exec_lo, s0
	v_or_b32_e32 v6, 0x800, v0
	s_delay_alu instid0(VALU_DEP_1) | instskip(NEXT) | instid1(VALU_DEP_1)
	v_cmp_gt_u32_e64 s0, s3, v6
	s_and_saveexec_b32 s8, s0
	s_cbranch_execz .LBB10_7
; %bb.6:
	v_add_co_u32 v6, vcc_lo, 0x1000, v3
	v_add_co_ci_u32_e32 v7, vcc_lo, 0, v4, vcc_lo
	global_load_d16_b16 v2, v[6:7], off
.LBB10_7:
	s_or_b32 exec_lo, exec_lo, s8
	v_or_b32_e32 v6, 0xc00, v0
	s_delay_alu instid0(VALU_DEP_1)
	v_cmp_gt_u32_e32 vcc_lo, s3, v6
	s_and_saveexec_b32 s8, vcc_lo
	s_cbranch_execz .LBB10_9
; %bb.8:
	v_add_co_u32 v3, s3, 0x1000, v3
	s_delay_alu instid0(VALU_DEP_1)
	v_add_co_ci_u32_e64 v4, s3, 0, v4, s3
	global_load_d16_hi_b16 v2, v[3:4], off offset:2048
.LBB10_9:
	s_or_b32 exec_lo, exec_lo, s8
	v_or_b32_e32 v3, 0xfffffc00, v0
	v_lshlrev_b32_e32 v4, 2, v0
	v_mov_b32_e32 v6, 0
	s_mov_b32 s3, 0
.LBB10_10:                              ; =>This Inner Loop Header: Depth=1
	s_delay_alu instid0(VALU_DEP_3) | instskip(NEXT) | instid1(VALU_DEP_1)
	v_add_co_u32 v3, s8, 0x400, v3
	s_xor_b32 s8, s8, -1
	ds_store_b32 v4, v6
	v_add_nc_u32_e32 v4, 0x1000, v4
	s_and_b32 s8, exec_lo, s8
	s_delay_alu instid0(SALU_CYCLE_1) | instskip(NEXT) | instid1(SALU_CYCLE_1)
	s_or_b32 s3, s8, s3
	s_and_not1_b32 exec_lo, exec_lo, s3
	s_cbranch_execnz .LBB10_10
; %bb.11:
	s_or_b32 exec_lo, exec_lo, s3
	s_cmp_gt_u32 s13, s12
	s_waitcnt vmcnt(0) lgkmcnt(0)
	s_cselect_b32 s3, -1, 0
	s_cmp_le_u32 s13, s12
	s_barrier
	buffer_gl0_inv
	s_cbranch_scc1 .LBB10_28
; %bb.12:
	v_dual_mov_b32 v6, 1 :: v_dual_and_b32 v3, 3, v0
	v_xor_b32_e32 v4, -1, v1
	s_sub_i32 s8, s13, s12
	s_mov_b32 s10, s12
	s_delay_alu instid0(VALU_DEP_2) | instskip(SKIP_1) | instid1(VALU_DEP_1)
	v_lshlrev_b32_e32 v3, 2, v3
	s_mov_b32 s9, s8
	v_dual_mov_b32 v7, v3 :: v_dual_and_b32 v4, 0xffff, v4
	s_branch .LBB10_14
	.p2align	6
.LBB10_13:                              ;   in Loop: Header=BB10_14 Depth=1
	s_or_b32 exec_lo, exec_lo, s11
	v_add_nc_u32_e32 v7, 0x1000, v7
	s_add_i32 s10, s10, 8
	s_add_i32 s9, s9, -8
	s_cmp_ge_u32 s10, s13
	s_cbranch_scc1 .LBB10_16
.LBB10_14:                              ; =>This Inner Loop Header: Depth=1
	s_and_saveexec_b32 s11, s2
	s_cbranch_execz .LBB10_13
; %bb.15:                               ;   in Loop: Header=BB10_14 Depth=1
	s_delay_alu instid0(VALU_DEP_1)
	v_lshrrev_b32_e32 v8, s10, v4
	s_min_u32 s14, s9, 8
	s_delay_alu instid0(VALU_DEP_1) | instid1(SALU_CYCLE_1)
	v_bfe_u32 v8, v8, 0, s14
	s_delay_alu instid0(VALU_DEP_1)
	v_lshl_add_u32 v8, v8, 4, v7
	ds_add_u32 v8, v6
	s_branch .LBB10_13
.LBB10_16:
	v_lshrrev_b32_e32 v1, 16, v1
	v_mov_b32_e32 v6, v3
	s_mov_b32 s2, s8
	s_mov_b32 s9, s12
	s_delay_alu instid0(VALU_DEP_2) | instskip(NEXT) | instid1(VALU_DEP_1)
	v_xor_b32_e32 v4, -1, v1
	v_dual_mov_b32 v1, 1 :: v_dual_and_b32 v4, 0xffff, v4
	s_branch .LBB10_18
	.p2align	6
.LBB10_17:                              ;   in Loop: Header=BB10_18 Depth=1
	s_or_b32 exec_lo, exec_lo, s10
	v_add_nc_u32_e32 v6, 0x1000, v6
	s_add_i32 s9, s9, 8
	s_add_i32 s2, s2, -8
	s_cmp_lt_u32 s9, s13
	s_cbranch_scc0 .LBB10_20
.LBB10_18:                              ; =>This Inner Loop Header: Depth=1
	s_and_saveexec_b32 s10, s1
	s_cbranch_execz .LBB10_17
; %bb.19:                               ;   in Loop: Header=BB10_18 Depth=1
	s_delay_alu instid0(VALU_DEP_1)
	v_lshrrev_b32_e32 v7, s9, v4
	s_min_u32 s11, s2, 8
	s_delay_alu instid0(VALU_DEP_1) | instid1(SALU_CYCLE_1)
	v_bfe_u32 v7, v7, 0, s11
	s_delay_alu instid0(VALU_DEP_1)
	v_lshl_add_u32 v7, v7, 4, v6
	ds_add_u32 v7, v1
	s_branch .LBB10_17
.LBB10_20:
	v_xor_b32_e32 v4, -1, v2
	v_dual_mov_b32 v1, 1 :: v_dual_mov_b32 v6, v3
	s_mov_b32 s1, s8
	s_mov_b32 s2, s12
	s_delay_alu instid0(VALU_DEP_2)
	v_and_b32_e32 v4, 0xffff, v4
	s_branch .LBB10_22
	.p2align	6
.LBB10_21:                              ;   in Loop: Header=BB10_22 Depth=1
	s_or_b32 exec_lo, exec_lo, s9
	v_add_nc_u32_e32 v6, 0x1000, v6
	s_add_i32 s2, s2, 8
	s_add_i32 s1, s1, -8
	s_cmp_lt_u32 s2, s13
	s_cbranch_scc0 .LBB10_24
.LBB10_22:                              ; =>This Inner Loop Header: Depth=1
	s_and_saveexec_b32 s9, s0
	s_cbranch_execz .LBB10_21
; %bb.23:                               ;   in Loop: Header=BB10_22 Depth=1
	s_delay_alu instid0(VALU_DEP_1)
	v_lshrrev_b32_e32 v7, s2, v4
	s_min_u32 s10, s1, 8
	s_delay_alu instid0(VALU_DEP_1) | instid1(SALU_CYCLE_1)
	v_bfe_u32 v7, v7, 0, s10
	s_delay_alu instid0(VALU_DEP_1)
	v_lshl_add_u32 v7, v7, 4, v6
	ds_add_u32 v7, v1
	s_branch .LBB10_21
.LBB10_24:
	v_lshrrev_b32_e32 v1, 16, v2
	s_mov_b32 s0, s12
	v_mov_b32_e32 v2, 1
	s_delay_alu instid0(VALU_DEP_2) | instskip(NEXT) | instid1(VALU_DEP_1)
	v_xor_b32_e32 v1, -1, v1
	v_and_b32_e32 v1, 0xffff, v1
	s_branch .LBB10_26
	.p2align	6
.LBB10_25:                              ;   in Loop: Header=BB10_26 Depth=1
	s_or_b32 exec_lo, exec_lo, s1
	v_add_nc_u32_e32 v3, 0x1000, v3
	s_add_i32 s0, s0, 8
	s_add_i32 s8, s8, -8
	s_cmp_lt_u32 s0, s13
	s_cbranch_scc0 .LBB10_28
.LBB10_26:                              ; =>This Inner Loop Header: Depth=1
	s_and_saveexec_b32 s1, vcc_lo
	s_cbranch_execz .LBB10_25
; %bb.27:                               ;   in Loop: Header=BB10_26 Depth=1
	s_delay_alu instid0(VALU_DEP_1)
	v_lshrrev_b32_e32 v4, s0, v1
	s_min_u32 s2, s8, 8
	s_delay_alu instid0(VALU_DEP_1) | instid1(SALU_CYCLE_1)
	v_bfe_u32 v4, v4, 0, s2
	s_delay_alu instid0(VALU_DEP_1)
	v_lshl_add_u32 v4, v4, 4, v3
	ds_add_u32 v4, v2
	s_branch .LBB10_25
.LBB10_28:
	s_and_b32 vcc_lo, exec_lo, s3
	s_waitcnt lgkmcnt(0)
	s_barrier
	buffer_gl0_inv
	s_cbranch_vccz .LBB10_33
; %bb.29:
	v_cmp_gt_u32_e32 vcc_lo, 0x100, v0
	v_dual_mov_b32 v2, 0 :: v_dual_lshlrev_b32 v3, 4, v0
	v_mov_b32_e32 v1, v0
	s_mov_b32 s1, s12
	s_set_inst_prefetch_distance 0x1
	s_branch .LBB10_31
	.p2align	6
.LBB10_30:                              ;   in Loop: Header=BB10_31 Depth=1
	s_or_b32 exec_lo, exec_lo, s2
	v_add_nc_u32_e32 v1, 0x100, v1
	v_add_nc_u32_e32 v3, 0x1000, v3
	s_add_i32 s1, s1, 8
	s_delay_alu instid0(SALU_CYCLE_1)
	s_cmp_lt_u32 s1, s13
	s_cbranch_scc0 .LBB10_33
.LBB10_31:                              ; =>This Inner Loop Header: Depth=1
	s_and_saveexec_b32 s2, vcc_lo
	s_cbranch_execz .LBB10_30
; %bb.32:                               ;   in Loop: Header=BB10_31 Depth=1
	ds_load_2addr_b32 v[6:7], v3 offset1:1
	ds_load_2addr_b32 v[8:9], v3 offset0:2 offset1:3
	v_lshlrev_b64 v[10:11], 3, v[1:2]
	s_waitcnt lgkmcnt(1)
	v_add_nc_u32_e32 v4, v7, v6
	s_delay_alu instid0(VALU_DEP_2) | instskip(NEXT) | instid1(VALU_DEP_1)
	v_add_co_u32 v6, s0, s6, v10
	v_add_co_ci_u32_e64 v7, s0, s7, v11, s0
	s_waitcnt lgkmcnt(0)
	s_delay_alu instid0(VALU_DEP_3)
	v_add3_u32 v8, v4, v8, v9
	v_mov_b32_e32 v9, v2
	global_atomic_add_u64 v[6:7], v[8:9], off
	s_branch .LBB10_30
.LBB10_33:
	s_set_inst_prefetch_distance 0x2
	s_mov_b32 s0, 0
.LBB10_34:
	s_delay_alu instid0(SALU_CYCLE_1)
	s_and_b32 vcc_lo, exec_lo, s0
	s_cbranch_vccz .LBB10_58
; %bb.35:
	v_add_co_u32 v1, s0, s4, v5
	s_delay_alu instid0(VALU_DEP_1) | instskip(SKIP_1) | instid1(VALU_DEP_2)
	v_add_co_ci_u32_e64 v2, null, s5, 0, s0
	s_cmp_eq_u32 s12, 0
	v_add_co_u32 v1, vcc_lo, 0x1000, v1
	s_delay_alu instid0(VALU_DEP_2)
	v_add_co_ci_u32_e32 v2, vcc_lo, 0, v2, vcc_lo
	s_cselect_b32 s0, -1, 0
	s_cmp_eq_u32 s13, 16
	s_clause 0x3
	global_load_u16 v7, v5, s[4:5] offset:2048
	global_load_u16 v6, v[1:2], off
	global_load_u16 v5, v5, s[4:5]
	global_load_u16 v4, v[1:2], off offset:2048
	s_cselect_b32 s1, -1, 0
	v_or_b32_e32 v8, 0xfffffc00, v0
	v_lshlrev_b32_e32 v3, 2, v0
	s_and_b32 s1, s0, s1
	s_mov_b32 s0, 0
	s_and_b32 vcc_lo, exec_lo, s1
	s_mov_b32 s1, -1
	s_cbranch_vccnz .LBB10_53
; %bb.36:
	v_or_b32_e32 v1, 0xfffffc00, v0
	v_dual_mov_b32 v9, 0 :: v_dual_lshlrev_b32 v2, 2, v0
.LBB10_37:                              ; =>This Inner Loop Header: Depth=1
	s_delay_alu instid0(VALU_DEP_2) | instskip(NEXT) | instid1(VALU_DEP_1)
	v_add_co_u32 v1, s1, 0x400, v1
	s_xor_b32 s1, s1, -1
	ds_store_b32 v2, v9
	v_add_nc_u32_e32 v2, 0x1000, v2
	s_and_b32 s1, exec_lo, s1
	s_delay_alu instid0(SALU_CYCLE_1) | instskip(NEXT) | instid1(SALU_CYCLE_1)
	s_or_b32 s0, s1, s0
	s_and_not1_b32 exec_lo, exec_lo, s0
	s_cbranch_execnz .LBB10_37
; %bb.38:
	s_or_b32 exec_lo, exec_lo, s0
	s_cmp_gt_u32 s13, s12
	s_waitcnt vmcnt(0) lgkmcnt(0)
	s_waitcnt_vscnt null, 0x0
	s_cselect_b32 s0, -1, 0
	s_cmp_le_u32 s13, s12
	s_barrier
	buffer_gl0_inv
	s_cbranch_scc1 .LBB10_47
; %bb.39:
	v_and_b32_e32 v1, 3, v0
	v_xor_b32_e32 v2, -1, v5
	s_sub_i32 s1, s13, s12
	s_mov_b32 s3, s12
	s_mov_b32 s2, s1
	v_lshlrev_b32_e32 v1, 2, v1
	v_dual_mov_b32 v9, 1 :: v_dual_and_b32 v2, 0xffff, v2
	s_delay_alu instid0(VALU_DEP_2)
	v_mov_b32_e32 v10, v1
.LBB10_40:                              ; =>This Inner Loop Header: Depth=1
	s_delay_alu instid0(VALU_DEP_2)
	v_lshrrev_b32_e32 v11, s3, v2
	s_min_u32 s4, s2, 8
	s_add_i32 s3, s3, 8
	s_add_i32 s2, s2, -8
	s_cmp_ge_u32 s3, s13
	v_bfe_u32 v11, v11, 0, s4
	s_delay_alu instid0(VALU_DEP_1)
	v_lshl_add_u32 v11, v11, 4, v10
	v_add_nc_u32_e32 v10, 0x1000, v10
	ds_add_u32 v11, v9
	s_cbranch_scc0 .LBB10_40
; %bb.41:
	v_xor_b32_e32 v9, -1, v7
	v_mov_b32_e32 v2, 1
	v_mov_b32_e32 v10, v1
	s_mov_b32 s2, s1
	s_mov_b32 s3, s12
	v_and_b32_e32 v9, 0xffff, v9
.LBB10_42:                              ; =>This Inner Loop Header: Depth=1
	s_delay_alu instid0(VALU_DEP_1)
	v_lshrrev_b32_e32 v11, s3, v9
	s_min_u32 s4, s2, 8
	s_add_i32 s3, s3, 8
	s_add_i32 s2, s2, -8
	s_cmp_lt_u32 s3, s13
	v_bfe_u32 v11, v11, 0, s4
	s_delay_alu instid0(VALU_DEP_1)
	v_lshl_add_u32 v11, v11, 4, v10
	v_add_nc_u32_e32 v10, 0x1000, v10
	ds_add_u32 v11, v2
	s_cbranch_scc1 .LBB10_42
; %bb.43:
	v_xor_b32_e32 v9, -1, v6
	v_mov_b32_e32 v2, 1
	v_mov_b32_e32 v10, v1
	s_mov_b32 s2, s1
	s_mov_b32 s3, s12
	v_and_b32_e32 v9, 0xffff, v9
.LBB10_44:                              ; =>This Inner Loop Header: Depth=1
	s_delay_alu instid0(VALU_DEP_1)
	v_lshrrev_b32_e32 v11, s3, v9
	s_min_u32 s4, s2, 8
	s_add_i32 s3, s3, 8
	s_add_i32 s2, s2, -8
	s_cmp_lt_u32 s3, s13
	v_bfe_u32 v11, v11, 0, s4
	s_delay_alu instid0(VALU_DEP_1)
	v_lshl_add_u32 v11, v11, 4, v10
	v_add_nc_u32_e32 v10, 0x1000, v10
	ds_add_u32 v11, v2
	s_cbranch_scc1 .LBB10_44
; %bb.45:
	v_xor_b32_e32 v2, -1, v4
	s_mov_b32 s2, s12
	s_delay_alu instid0(VALU_DEP_1)
	v_dual_mov_b32 v9, 1 :: v_dual_and_b32 v2, 0xffff, v2
.LBB10_46:                              ; =>This Inner Loop Header: Depth=1
	s_delay_alu instid0(VALU_DEP_1)
	v_lshrrev_b32_e32 v10, s2, v2
	s_min_u32 s3, s1, 8
	s_add_i32 s2, s2, 8
	s_add_i32 s1, s1, -8
	s_cmp_lt_u32 s2, s13
	v_bfe_u32 v10, v10, 0, s3
	s_delay_alu instid0(VALU_DEP_1)
	v_lshl_add_u32 v10, v10, 4, v1
	v_add_nc_u32_e32 v1, 0x1000, v1
	ds_add_u32 v10, v9
	s_cbranch_scc1 .LBB10_46
.LBB10_47:
	s_and_b32 vcc_lo, exec_lo, s0
	s_waitcnt lgkmcnt(0)
	s_barrier
	buffer_gl0_inv
	s_cbranch_vccz .LBB10_52
; %bb.48:
	v_cmp_gt_u32_e32 vcc_lo, 0x100, v0
	v_dual_mov_b32 v2, 0 :: v_dual_lshlrev_b32 v9, 4, v0
	v_mov_b32_e32 v1, v0
	s_set_inst_prefetch_distance 0x1
	s_branch .LBB10_50
	.p2align	6
.LBB10_49:                              ;   in Loop: Header=BB10_50 Depth=1
	s_or_b32 exec_lo, exec_lo, s1
	v_add_nc_u32_e32 v1, 0x100, v1
	v_add_nc_u32_e32 v9, 0x1000, v9
	s_add_i32 s12, s12, 8
	s_delay_alu instid0(SALU_CYCLE_1)
	s_cmp_ge_u32 s12, s13
	s_cbranch_scc1 .LBB10_52
.LBB10_50:                              ; =>This Inner Loop Header: Depth=1
	s_and_saveexec_b32 s1, vcc_lo
	s_cbranch_execz .LBB10_49
; %bb.51:                               ;   in Loop: Header=BB10_50 Depth=1
	ds_load_2addr_b32 v[10:11], v9 offset1:1
	ds_load_2addr_b32 v[12:13], v9 offset0:2 offset1:3
	v_lshlrev_b64 v[14:15], 3, v[1:2]
	s_waitcnt lgkmcnt(1)
	v_add_nc_u32_e32 v16, v11, v10
	s_delay_alu instid0(VALU_DEP_2) | instskip(NEXT) | instid1(VALU_DEP_1)
	v_add_co_u32 v10, s0, s6, v14
	v_add_co_ci_u32_e64 v11, s0, s7, v15, s0
	s_waitcnt lgkmcnt(0)
	s_delay_alu instid0(VALU_DEP_3)
	v_add3_u32 v12, v16, v12, v13
	v_mov_b32_e32 v13, v2
	global_atomic_add_u64 v[10:11], v[12:13], off
	s_branch .LBB10_49
.LBB10_52:
	s_set_inst_prefetch_distance 0x2
	s_mov_b32 s1, 0
.LBB10_53:
	s_delay_alu instid0(SALU_CYCLE_1)
	s_and_b32 vcc_lo, exec_lo, s1
	s_cbranch_vccz .LBB10_58
; %bb.54:
	v_dual_mov_b32 v1, 0 :: v_dual_mov_b32 v2, v3
	s_mov_b32 s0, 0
.LBB10_55:                              ; =>This Inner Loop Header: Depth=1
	v_add_co_u32 v8, s1, 0x400, v8
	s_delay_alu instid0(VALU_DEP_1) | instskip(SKIP_3) | instid1(SALU_CYCLE_1)
	s_xor_b32 s1, s1, -1
	ds_store_b32 v2, v1
	v_add_nc_u32_e32 v2, 0x1000, v2
	s_and_b32 s1, exec_lo, s1
	s_or_b32 s0, s1, s0
	s_delay_alu instid0(SALU_CYCLE_1)
	s_and_not1_b32 exec_lo, exec_lo, s0
	s_cbranch_execnz .LBB10_55
; %bb.56:
	s_or_b32 exec_lo, exec_lo, s0
	s_waitcnt vmcnt(1)
	v_xor_b32_e32 v1, -1, v5
	v_xor_b32_e32 v2, -1, v7
	v_xor_b32_e32 v5, -1, v6
	v_and_b32_e32 v6, 3, v0
	s_waitcnt vmcnt(0)
	v_xor_b32_e32 v4, -1, v4
	v_and_b32_e32 v1, 0xffff, v1
	v_dual_mov_b32 v9, 1 :: v_dual_and_b32 v2, 0xffff, v2
	v_and_b32_e32 v5, 0xffff, v5
	s_delay_alu instid0(VALU_DEP_4) | instskip(NEXT) | instid1(VALU_DEP_4)
	v_and_b32_e32 v4, 0xffff, v4
	v_lshlrev_b32_e32 v7, 2, v1
	v_lshrrev_b32_e32 v1, 6, v1
	v_lshlrev_b32_e32 v8, 2, v2
	v_lshrrev_b32_e32 v2, 6, v2
	v_lshlrev_b32_e32 v10, 2, v5
	v_and_or_b32 v7, 0x3fc, v7, v6
	v_and_or_b32 v1, 0x3fc, v1, v6
	;; [unrolled: 1-line block ×3, first 2 shown]
	v_lshrrev_b32_e32 v5, 6, v5
	s_waitcnt lgkmcnt(0)
	s_waitcnt_vscnt null, 0x0
	v_lshlrev_b32_e32 v7, 2, v7
	v_lshlrev_b32_e32 v1, 2, v1
	;; [unrolled: 1-line block ×3, first 2 shown]
	s_barrier
	buffer_gl0_inv
	ds_add_u32 v7, v9
	ds_add_u32 v1, v9 offset:4096
	ds_add_u32 v8, v9
	v_lshlrev_b32_e32 v1, 2, v4
	v_lshrrev_b32_e32 v4, 6, v4
	v_and_or_b32 v2, 0x3fc, v2, v6
	v_and_or_b32 v7, 0x3fc, v10, v6
	;; [unrolled: 1-line block ×5, first 2 shown]
	v_lshlrev_b32_e32 v2, 2, v2
	v_lshlrev_b32_e32 v6, 2, v7
	;; [unrolled: 1-line block ×5, first 2 shown]
	ds_add_u32 v2, v9 offset:4096
	ds_add_u32 v6, v9
	ds_add_u32 v5, v9 offset:4096
	ds_add_u32 v1, v9
	ds_add_u32 v4, v9 offset:4096
	s_waitcnt lgkmcnt(0)
	s_barrier
	buffer_gl0_inv
	s_mov_b32 s0, exec_lo
	v_cmpx_gt_u32_e32 0x100, v0
	s_cbranch_execz .LBB10_58
; %bb.57:
	v_lshlrev_b32_e32 v5, 2, v3
	v_lshlrev_b32_e32 v6, 3, v0
	ds_load_2addr_b32 v[1:2], v5 offset1:1
	ds_load_2addr_b32 v[3:4], v5 offset0:2 offset1:3
	s_waitcnt lgkmcnt(1)
	v_dual_mov_b32 v1, 0 :: v_dual_add_nc_u32 v2, v2, v1
	s_waitcnt lgkmcnt(0)
	s_delay_alu instid0(VALU_DEP_1)
	v_add3_u32 v0, v2, v3, v4
	v_add_nc_u32_e32 v2, 0x1000, v5
	global_atomic_add_u64 v6, v[0:1], s[6:7]
	v_add_nc_u32_e32 v0, 0x1008, v5
	ds_load_2addr_b32 v[2:3], v2 offset1:1
	ds_load_2addr_b32 v[4:5], v0 offset1:1
	s_waitcnt lgkmcnt(1)
	v_add_nc_u32_e32 v0, v3, v2
	s_waitcnt lgkmcnt(0)
	s_delay_alu instid0(VALU_DEP_1)
	v_add3_u32 v0, v0, v4, v5
	global_atomic_add_u64 v6, v[0:1], s[6:7] offset:2048
.LBB10_58:
	s_nop 0
	s_sendmsg sendmsg(MSG_DEALLOC_VGPRS)
	s_endpgm
	.section	.rodata,"a",@progbits
	.p2align	6, 0x0
	.amdhsa_kernel _ZN7rocprim17ROCPRIM_304000_NS6detail26onesweep_histograms_kernelINS1_34wrapped_radix_sort_onesweep_configINS0_14default_configEtN2at4cuda3cub6detail10OpaqueTypeILi8EEEEELb1EPKtmNS0_19identity_decomposerEEEvT1_PT2_SG_SG_T3_jj
		.amdhsa_group_segment_fixed_size 8192
		.amdhsa_private_segment_fixed_size 0
		.amdhsa_kernarg_size 44
		.amdhsa_user_sgpr_count 15
		.amdhsa_user_sgpr_dispatch_ptr 0
		.amdhsa_user_sgpr_queue_ptr 0
		.amdhsa_user_sgpr_kernarg_segment_ptr 1
		.amdhsa_user_sgpr_dispatch_id 0
		.amdhsa_user_sgpr_private_segment_size 0
		.amdhsa_wavefront_size32 1
		.amdhsa_uses_dynamic_stack 0
		.amdhsa_enable_private_segment 0
		.amdhsa_system_sgpr_workgroup_id_x 1
		.amdhsa_system_sgpr_workgroup_id_y 0
		.amdhsa_system_sgpr_workgroup_id_z 0
		.amdhsa_system_sgpr_workgroup_info 0
		.amdhsa_system_vgpr_workitem_id 0
		.amdhsa_next_free_vgpr 17
		.amdhsa_next_free_sgpr 16
		.amdhsa_reserve_vcc 1
		.amdhsa_float_round_mode_32 0
		.amdhsa_float_round_mode_16_64 0
		.amdhsa_float_denorm_mode_32 3
		.amdhsa_float_denorm_mode_16_64 3
		.amdhsa_dx10_clamp 1
		.amdhsa_ieee_mode 1
		.amdhsa_fp16_overflow 0
		.amdhsa_workgroup_processor_mode 1
		.amdhsa_memory_ordered 1
		.amdhsa_forward_progress 0
		.amdhsa_shared_vgpr_count 0
		.amdhsa_exception_fp_ieee_invalid_op 0
		.amdhsa_exception_fp_denorm_src 0
		.amdhsa_exception_fp_ieee_div_zero 0
		.amdhsa_exception_fp_ieee_overflow 0
		.amdhsa_exception_fp_ieee_underflow 0
		.amdhsa_exception_fp_ieee_inexact 0
		.amdhsa_exception_int_div_zero 0
	.end_amdhsa_kernel
	.section	.text._ZN7rocprim17ROCPRIM_304000_NS6detail26onesweep_histograms_kernelINS1_34wrapped_radix_sort_onesweep_configINS0_14default_configEtN2at4cuda3cub6detail10OpaqueTypeILi8EEEEELb1EPKtmNS0_19identity_decomposerEEEvT1_PT2_SG_SG_T3_jj,"axG",@progbits,_ZN7rocprim17ROCPRIM_304000_NS6detail26onesweep_histograms_kernelINS1_34wrapped_radix_sort_onesweep_configINS0_14default_configEtN2at4cuda3cub6detail10OpaqueTypeILi8EEEEELb1EPKtmNS0_19identity_decomposerEEEvT1_PT2_SG_SG_T3_jj,comdat
.Lfunc_end10:
	.size	_ZN7rocprim17ROCPRIM_304000_NS6detail26onesweep_histograms_kernelINS1_34wrapped_radix_sort_onesweep_configINS0_14default_configEtN2at4cuda3cub6detail10OpaqueTypeILi8EEEEELb1EPKtmNS0_19identity_decomposerEEEvT1_PT2_SG_SG_T3_jj, .Lfunc_end10-_ZN7rocprim17ROCPRIM_304000_NS6detail26onesweep_histograms_kernelINS1_34wrapped_radix_sort_onesweep_configINS0_14default_configEtN2at4cuda3cub6detail10OpaqueTypeILi8EEEEELb1EPKtmNS0_19identity_decomposerEEEvT1_PT2_SG_SG_T3_jj
                                        ; -- End function
	.section	.AMDGPU.csdata,"",@progbits
; Kernel info:
; codeLenInByte = 2464
; NumSgprs: 18
; NumVgprs: 17
; ScratchSize: 0
; MemoryBound: 0
; FloatMode: 240
; IeeeMode: 1
; LDSByteSize: 8192 bytes/workgroup (compile time only)
; SGPRBlocks: 2
; VGPRBlocks: 2
; NumSGPRsForWavesPerEU: 18
; NumVGPRsForWavesPerEU: 17
; Occupancy: 16
; WaveLimiterHint : 1
; COMPUTE_PGM_RSRC2:SCRATCH_EN: 0
; COMPUTE_PGM_RSRC2:USER_SGPR: 15
; COMPUTE_PGM_RSRC2:TRAP_HANDLER: 0
; COMPUTE_PGM_RSRC2:TGID_X_EN: 1
; COMPUTE_PGM_RSRC2:TGID_Y_EN: 0
; COMPUTE_PGM_RSRC2:TGID_Z_EN: 0
; COMPUTE_PGM_RSRC2:TIDIG_COMP_CNT: 0
	.section	.text._ZN7rocprim17ROCPRIM_304000_NS6detail31onesweep_scan_histograms_kernelINS1_34wrapped_radix_sort_onesweep_configINS0_14default_configEtN2at4cuda3cub6detail10OpaqueTypeILi8EEEEEmEEvPT0_,"axG",@progbits,_ZN7rocprim17ROCPRIM_304000_NS6detail31onesweep_scan_histograms_kernelINS1_34wrapped_radix_sort_onesweep_configINS0_14default_configEtN2at4cuda3cub6detail10OpaqueTypeILi8EEEEEmEEvPT0_,comdat
	.protected	_ZN7rocprim17ROCPRIM_304000_NS6detail31onesweep_scan_histograms_kernelINS1_34wrapped_radix_sort_onesweep_configINS0_14default_configEtN2at4cuda3cub6detail10OpaqueTypeILi8EEEEEmEEvPT0_ ; -- Begin function _ZN7rocprim17ROCPRIM_304000_NS6detail31onesweep_scan_histograms_kernelINS1_34wrapped_radix_sort_onesweep_configINS0_14default_configEtN2at4cuda3cub6detail10OpaqueTypeILi8EEEEEmEEvPT0_
	.globl	_ZN7rocprim17ROCPRIM_304000_NS6detail31onesweep_scan_histograms_kernelINS1_34wrapped_radix_sort_onesweep_configINS0_14default_configEtN2at4cuda3cub6detail10OpaqueTypeILi8EEEEEmEEvPT0_
	.p2align	8
	.type	_ZN7rocprim17ROCPRIM_304000_NS6detail31onesweep_scan_histograms_kernelINS1_34wrapped_radix_sort_onesweep_configINS0_14default_configEtN2at4cuda3cub6detail10OpaqueTypeILi8EEEEEmEEvPT0_,@function
_ZN7rocprim17ROCPRIM_304000_NS6detail31onesweep_scan_histograms_kernelINS1_34wrapped_radix_sort_onesweep_configINS0_14default_configEtN2at4cuda3cub6detail10OpaqueTypeILi8EEEEEmEEvPT0_: ; @_ZN7rocprim17ROCPRIM_304000_NS6detail31onesweep_scan_histograms_kernelINS1_34wrapped_radix_sort_onesweep_configINS0_14default_configEtN2at4cuda3cub6detail10OpaqueTypeILi8EEEEEmEEvPT0_
; %bb.0:
	s_load_b64 s[0:1], s[0:1], 0x0
	s_lshl_b32 s2, s15, 8
	s_mov_b32 s3, 0
	v_cmp_gt_u32_e32 vcc_lo, 0x100, v0
	s_lshl_b64 s[2:3], s[2:3], 3
	v_lshlrev_b32_e32 v5, 3, v0
                                        ; implicit-def: $vgpr1_vgpr2
	s_waitcnt lgkmcnt(0)
	s_add_u32 s8, s0, s2
	s_addc_u32 s9, s1, s3
	s_and_saveexec_b32 s0, vcc_lo
	s_cbranch_execz .LBB11_2
; %bb.1:
	global_load_b64 v[1:2], v5, s[8:9]
.LBB11_2:
	s_or_b32 exec_lo, exec_lo, s0
	v_mbcnt_lo_u32_b32 v6, -1, 0
	s_waitcnt vmcnt(0)
	v_mov_b32_dpp v8, v1 row_shr:1 row_mask:0xf bank_mask:0xf
	v_mov_b32_dpp v7, v2 row_shr:1 row_mask:0xf bank_mask:0xf
	s_delay_alu instid0(VALU_DEP_3) | instskip(NEXT) | instid1(VALU_DEP_1)
	v_dual_mov_b32 v3, v1 :: v_dual_and_b32 v4, 15, v6
	v_cmp_ne_u32_e64 s0, 0, v4
	s_delay_alu instid0(VALU_DEP_1)
	s_and_saveexec_b32 s2, s0
; %bb.3:
	v_add_co_u32 v3, s1, v1, v8
	s_delay_alu instid0(VALU_DEP_1) | instskip(NEXT) | instid1(VALU_DEP_2)
	v_add_co_ci_u32_e64 v2, s1, 0, v2, s1
	v_add_co_u32 v1, s1, 0, v3
	s_delay_alu instid0(VALU_DEP_1)
	v_add_co_ci_u32_e64 v2, s1, v7, v2, s1
; %bb.4:
	s_or_b32 exec_lo, exec_lo, s2
	v_mov_b32_dpp v8, v3 row_shr:2 row_mask:0xf bank_mask:0xf
	s_delay_alu instid0(VALU_DEP_2) | instskip(SKIP_1) | instid1(VALU_DEP_1)
	v_mov_b32_dpp v7, v2 row_shr:2 row_mask:0xf bank_mask:0xf
	v_cmp_lt_u32_e64 s1, 1, v4
	s_and_saveexec_b32 s3, s1
; %bb.5:
	s_delay_alu instid0(VALU_DEP_3) | instskip(NEXT) | instid1(VALU_DEP_1)
	v_add_co_u32 v3, s2, v1, v8
	v_add_co_ci_u32_e64 v2, s2, 0, v2, s2
	s_delay_alu instid0(VALU_DEP_2) | instskip(NEXT) | instid1(VALU_DEP_1)
	v_add_co_u32 v1, s2, 0, v3
	v_add_co_ci_u32_e64 v2, s2, v7, v2, s2
; %bb.6:
	s_or_b32 exec_lo, exec_lo, s3
	v_mov_b32_dpp v8, v3 row_shr:4 row_mask:0xf bank_mask:0xf
	s_delay_alu instid0(VALU_DEP_2) | instskip(SKIP_1) | instid1(VALU_DEP_1)
	v_mov_b32_dpp v7, v2 row_shr:4 row_mask:0xf bank_mask:0xf
	v_cmp_lt_u32_e64 s2, 3, v4
	s_and_saveexec_b32 s4, s2
; %bb.7:
	s_delay_alu instid0(VALU_DEP_3) | instskip(NEXT) | instid1(VALU_DEP_1)
	v_add_co_u32 v3, s3, v1, v8
	v_add_co_ci_u32_e64 v2, s3, 0, v2, s3
	s_delay_alu instid0(VALU_DEP_2) | instskip(NEXT) | instid1(VALU_DEP_1)
	v_add_co_u32 v1, s3, 0, v3
	;; [unrolled: 14-line block ×3, first 2 shown]
	v_add_co_ci_u32_e64 v2, s4, v7, v2, s4
; %bb.10:
	s_or_b32 exec_lo, exec_lo, s5
	ds_swizzle_b32 v4, v3 offset:swizzle(BROADCAST,32,15)
	ds_swizzle_b32 v3, v2 offset:swizzle(BROADCAST,32,15)
	v_and_b32_e32 v7, 16, v6
	s_delay_alu instid0(VALU_DEP_1) | instskip(NEXT) | instid1(VALU_DEP_1)
	v_cmp_ne_u32_e64 s4, 0, v7
	s_and_saveexec_b32 s6, s4
	s_cbranch_execz .LBB11_12
; %bb.11:
	s_waitcnt lgkmcnt(1)
	v_add_co_u32 v1, s5, v1, v4
	s_delay_alu instid0(VALU_DEP_1) | instskip(NEXT) | instid1(VALU_DEP_2)
	v_add_co_ci_u32_e64 v2, s5, 0, v2, s5
	v_add_co_u32 v1, s5, v1, 0
	s_waitcnt lgkmcnt(0)
	s_delay_alu instid0(VALU_DEP_2)
	v_add_co_ci_u32_e64 v2, s5, v2, v3, s5
.LBB11_12:
	s_or_b32 exec_lo, exec_lo, s6
	s_waitcnt lgkmcnt(0)
	v_and_b32_e32 v3, 31, v0
	v_lshrrev_b32_e32 v7, 5, v0
	s_mov_b32 s6, exec_lo
	s_delay_alu instid0(VALU_DEP_2)
	v_cmpx_eq_u32_e32 31, v3
	s_cbranch_execz .LBB11_14
; %bb.13:
	s_delay_alu instid0(VALU_DEP_2)
	v_lshlrev_b32_e32 v3, 3, v7
	ds_store_b64 v3, v[1:2]
.LBB11_14:
	s_or_b32 exec_lo, exec_lo, s6
	v_cmp_lt_u32_e64 s5, 31, v0
	s_mov_b32 s7, exec_lo
	s_waitcnt lgkmcnt(0)
	s_barrier
	buffer_gl0_inv
	v_cmpx_gt_u32_e32 32, v0
	s_cbranch_execz .LBB11_26
; %bb.15:
	ds_load_b64 v[3:4], v5
	s_waitcnt lgkmcnt(0)
	v_mov_b32_dpp v9, v3 row_shr:1 row_mask:0xf bank_mask:0xf
	v_mov_b32_dpp v8, v4 row_shr:1 row_mask:0xf bank_mask:0xf
	v_mov_b32_e32 v0, v3
	s_and_saveexec_b32 s6, s0
; %bb.16:
	s_delay_alu instid0(VALU_DEP_3) | instskip(NEXT) | instid1(VALU_DEP_1)
	v_add_co_u32 v0, s0, v3, v9
	v_add_co_ci_u32_e64 v4, s0, 0, v4, s0
	s_delay_alu instid0(VALU_DEP_2) | instskip(NEXT) | instid1(VALU_DEP_1)
	v_add_co_u32 v3, s0, 0, v0
	v_add_co_ci_u32_e64 v4, s0, v8, v4, s0
; %bb.17:
	s_or_b32 exec_lo, exec_lo, s6
	v_mov_b32_dpp v9, v0 row_shr:2 row_mask:0xf bank_mask:0xf
	s_delay_alu instid0(VALU_DEP_2)
	v_mov_b32_dpp v8, v4 row_shr:2 row_mask:0xf bank_mask:0xf
	s_and_saveexec_b32 s6, s1
; %bb.18:
	s_delay_alu instid0(VALU_DEP_2) | instskip(NEXT) | instid1(VALU_DEP_1)
	v_add_co_u32 v0, s0, v3, v9
	v_add_co_ci_u32_e64 v4, s0, 0, v4, s0
	s_delay_alu instid0(VALU_DEP_2) | instskip(NEXT) | instid1(VALU_DEP_1)
	v_add_co_u32 v3, s0, 0, v0
	v_add_co_ci_u32_e64 v4, s0, v8, v4, s0
; %bb.19:
	s_or_b32 exec_lo, exec_lo, s6
	v_mov_b32_dpp v9, v0 row_shr:4 row_mask:0xf bank_mask:0xf
	s_delay_alu instid0(VALU_DEP_2)
	v_mov_b32_dpp v8, v4 row_shr:4 row_mask:0xf bank_mask:0xf
	s_and_saveexec_b32 s1, s2
; %bb.20:
	s_delay_alu instid0(VALU_DEP_2) | instskip(NEXT) | instid1(VALU_DEP_1)
	;; [unrolled: 13-line block ×3, first 2 shown]
	v_add_co_u32 v0, s0, v3, v9
	v_add_co_ci_u32_e64 v4, s0, 0, v4, s0
	s_delay_alu instid0(VALU_DEP_2) | instskip(NEXT) | instid1(VALU_DEP_1)
	v_add_co_u32 v3, s0, 0, v0
	v_add_co_ci_u32_e64 v4, s0, v8, v4, s0
; %bb.23:
	s_or_b32 exec_lo, exec_lo, s1
	ds_swizzle_b32 v8, v0 offset:swizzle(BROADCAST,32,15)
	ds_swizzle_b32 v0, v4 offset:swizzle(BROADCAST,32,15)
	s_and_saveexec_b32 s1, s4
	s_cbranch_execz .LBB11_25
; %bb.24:
	s_waitcnt lgkmcnt(1)
	v_add_co_u32 v3, s0, v3, v8
	s_delay_alu instid0(VALU_DEP_1) | instskip(NEXT) | instid1(VALU_DEP_2)
	v_add_co_ci_u32_e64 v4, s0, 0, v4, s0
	v_add_co_u32 v3, s0, v3, 0
	s_waitcnt lgkmcnt(0)
	s_delay_alu instid0(VALU_DEP_2)
	v_add_co_ci_u32_e64 v4, s0, v4, v0, s0
.LBB11_25:
	s_or_b32 exec_lo, exec_lo, s1
	ds_store_b64 v5, v[3:4]
.LBB11_26:
	s_or_b32 exec_lo, exec_lo, s7
	v_mov_b32_e32 v3, 0
	v_mov_b32_e32 v4, 0
	s_waitcnt lgkmcnt(0)
	s_barrier
	buffer_gl0_inv
	s_and_saveexec_b32 s0, s5
	s_cbranch_execz .LBB11_28
; %bb.27:
	v_lshl_add_u32 v0, v7, 3, -8
	ds_load_b64 v[3:4], v0
.LBB11_28:
	s_or_b32 exec_lo, exec_lo, s0
	v_add_nc_u32_e32 v0, -1, v6
	s_delay_alu instid0(VALU_DEP_1) | instskip(NEXT) | instid1(VALU_DEP_1)
	v_cmp_gt_i32_e64 s0, 0, v0
	v_cndmask_b32_e64 v0, v0, v6, s0
	s_delay_alu instid0(VALU_DEP_1) | instskip(SKIP_2) | instid1(VALU_DEP_1)
	v_lshlrev_b32_e32 v7, 2, v0
	s_waitcnt lgkmcnt(0)
	v_add_co_u32 v0, s0, v3, v1
	v_add_co_ci_u32_e64 v1, s0, v4, v2, s0
	ds_bpermute_b32 v0, v7, v0
	ds_bpermute_b32 v1, v7, v1
	s_and_saveexec_b32 s0, vcc_lo
	s_cbranch_execz .LBB11_30
; %bb.29:
	v_cmp_eq_u32_e32 vcc_lo, 0, v6
	s_waitcnt lgkmcnt(0)
	v_dual_cndmask_b32 v1, v1, v4 :: v_dual_cndmask_b32 v0, v0, v3
	global_store_b64 v5, v[0:1], s[8:9]
.LBB11_30:
	s_nop 0
	s_sendmsg sendmsg(MSG_DEALLOC_VGPRS)
	s_endpgm
	.section	.rodata,"a",@progbits
	.p2align	6, 0x0
	.amdhsa_kernel _ZN7rocprim17ROCPRIM_304000_NS6detail31onesweep_scan_histograms_kernelINS1_34wrapped_radix_sort_onesweep_configINS0_14default_configEtN2at4cuda3cub6detail10OpaqueTypeILi8EEEEEmEEvPT0_
		.amdhsa_group_segment_fixed_size 256
		.amdhsa_private_segment_fixed_size 0
		.amdhsa_kernarg_size 8
		.amdhsa_user_sgpr_count 15
		.amdhsa_user_sgpr_dispatch_ptr 0
		.amdhsa_user_sgpr_queue_ptr 0
		.amdhsa_user_sgpr_kernarg_segment_ptr 1
		.amdhsa_user_sgpr_dispatch_id 0
		.amdhsa_user_sgpr_private_segment_size 0
		.amdhsa_wavefront_size32 1
		.amdhsa_uses_dynamic_stack 0
		.amdhsa_enable_private_segment 0
		.amdhsa_system_sgpr_workgroup_id_x 1
		.amdhsa_system_sgpr_workgroup_id_y 0
		.amdhsa_system_sgpr_workgroup_id_z 0
		.amdhsa_system_sgpr_workgroup_info 0
		.amdhsa_system_vgpr_workitem_id 0
		.amdhsa_next_free_vgpr 10
		.amdhsa_next_free_sgpr 16
		.amdhsa_reserve_vcc 1
		.amdhsa_float_round_mode_32 0
		.amdhsa_float_round_mode_16_64 0
		.amdhsa_float_denorm_mode_32 3
		.amdhsa_float_denorm_mode_16_64 3
		.amdhsa_dx10_clamp 1
		.amdhsa_ieee_mode 1
		.amdhsa_fp16_overflow 0
		.amdhsa_workgroup_processor_mode 1
		.amdhsa_memory_ordered 1
		.amdhsa_forward_progress 0
		.amdhsa_shared_vgpr_count 0
		.amdhsa_exception_fp_ieee_invalid_op 0
		.amdhsa_exception_fp_denorm_src 0
		.amdhsa_exception_fp_ieee_div_zero 0
		.amdhsa_exception_fp_ieee_overflow 0
		.amdhsa_exception_fp_ieee_underflow 0
		.amdhsa_exception_fp_ieee_inexact 0
		.amdhsa_exception_int_div_zero 0
	.end_amdhsa_kernel
	.section	.text._ZN7rocprim17ROCPRIM_304000_NS6detail31onesweep_scan_histograms_kernelINS1_34wrapped_radix_sort_onesweep_configINS0_14default_configEtN2at4cuda3cub6detail10OpaqueTypeILi8EEEEEmEEvPT0_,"axG",@progbits,_ZN7rocprim17ROCPRIM_304000_NS6detail31onesweep_scan_histograms_kernelINS1_34wrapped_radix_sort_onesweep_configINS0_14default_configEtN2at4cuda3cub6detail10OpaqueTypeILi8EEEEEmEEvPT0_,comdat
.Lfunc_end11:
	.size	_ZN7rocprim17ROCPRIM_304000_NS6detail31onesweep_scan_histograms_kernelINS1_34wrapped_radix_sort_onesweep_configINS0_14default_configEtN2at4cuda3cub6detail10OpaqueTypeILi8EEEEEmEEvPT0_, .Lfunc_end11-_ZN7rocprim17ROCPRIM_304000_NS6detail31onesweep_scan_histograms_kernelINS1_34wrapped_radix_sort_onesweep_configINS0_14default_configEtN2at4cuda3cub6detail10OpaqueTypeILi8EEEEEmEEvPT0_
                                        ; -- End function
	.section	.AMDGPU.csdata,"",@progbits
; Kernel info:
; codeLenInByte = 1104
; NumSgprs: 18
; NumVgprs: 10
; ScratchSize: 0
; MemoryBound: 0
; FloatMode: 240
; IeeeMode: 1
; LDSByteSize: 256 bytes/workgroup (compile time only)
; SGPRBlocks: 2
; VGPRBlocks: 1
; NumSGPRsForWavesPerEU: 18
; NumVGPRsForWavesPerEU: 10
; Occupancy: 16
; WaveLimiterHint : 0
; COMPUTE_PGM_RSRC2:SCRATCH_EN: 0
; COMPUTE_PGM_RSRC2:USER_SGPR: 15
; COMPUTE_PGM_RSRC2:TRAP_HANDLER: 0
; COMPUTE_PGM_RSRC2:TGID_X_EN: 1
; COMPUTE_PGM_RSRC2:TGID_Y_EN: 0
; COMPUTE_PGM_RSRC2:TGID_Z_EN: 0
; COMPUTE_PGM_RSRC2:TIDIG_COMP_CNT: 0
	.section	.text._ZN7rocprim17ROCPRIM_304000_NS6detail16transform_kernelINS1_24wrapped_transform_configINS0_14default_configEtEEtPKtPtNS0_8identityItEEEEvT1_mT2_T3_,"axG",@progbits,_ZN7rocprim17ROCPRIM_304000_NS6detail16transform_kernelINS1_24wrapped_transform_configINS0_14default_configEtEEtPKtPtNS0_8identityItEEEEvT1_mT2_T3_,comdat
	.protected	_ZN7rocprim17ROCPRIM_304000_NS6detail16transform_kernelINS1_24wrapped_transform_configINS0_14default_configEtEEtPKtPtNS0_8identityItEEEEvT1_mT2_T3_ ; -- Begin function _ZN7rocprim17ROCPRIM_304000_NS6detail16transform_kernelINS1_24wrapped_transform_configINS0_14default_configEtEEtPKtPtNS0_8identityItEEEEvT1_mT2_T3_
	.globl	_ZN7rocprim17ROCPRIM_304000_NS6detail16transform_kernelINS1_24wrapped_transform_configINS0_14default_configEtEEtPKtPtNS0_8identityItEEEEvT1_mT2_T3_
	.p2align	8
	.type	_ZN7rocprim17ROCPRIM_304000_NS6detail16transform_kernelINS1_24wrapped_transform_configINS0_14default_configEtEEtPKtPtNS0_8identityItEEEEvT1_mT2_T3_,@function
_ZN7rocprim17ROCPRIM_304000_NS6detail16transform_kernelINS1_24wrapped_transform_configINS0_14default_configEtEEtPKtPtNS0_8identityItEEEEvT1_mT2_T3_: ; @_ZN7rocprim17ROCPRIM_304000_NS6detail16transform_kernelINS1_24wrapped_transform_configINS0_14default_configEtEEtPKtPtNS0_8identityItEEEEvT1_mT2_T3_
; %bb.0:
	s_clause 0x2
	s_load_b32 s10, s[0:1], 0x20
	s_load_b128 s[4:7], s[0:1], 0x0
	s_load_b64 s[2:3], s[0:1], 0x10
	s_mov_b32 s1, 0
	s_lshl_b32 s0, s15, 11
	v_lshlrev_b32_e32 v3, 1, v0
	s_lshl_b64 s[8:9], s[0:1], 1
	s_waitcnt lgkmcnt(0)
	s_add_i32 s10, s10, -1
	s_add_u32 s4, s4, s8
	s_addc_u32 s5, s5, s9
	v_add_co_u32 v1, s4, s4, v3
	s_delay_alu instid0(VALU_DEP_1)
	v_add_co_ci_u32_e64 v2, null, s5, 0, s4
	s_cmp_lg_u32 s15, s10
	s_mov_b32 s4, -1
	s_cbranch_scc0 .LBB12_2
; %bb.1:
	s_clause 0x1
	global_load_u16 v5, v[1:2], off
	global_load_u16 v4, v[1:2], off offset:2048
	s_add_u32 s10, s2, s8
	s_addc_u32 s11, s3, s9
	s_mov_b32 s1, -1
	s_waitcnt vmcnt(1)
	global_store_b16 v3, v5, s[10:11]
	s_cbranch_execz .LBB12_3
	s_branch .LBB12_10
.LBB12_2:
                                        ; implicit-def: $vgpr4
	s_and_not1_b32 vcc_lo, exec_lo, s4
	s_cbranch_vccnz .LBB12_10
.LBB12_3:
	s_sub_i32 s0, s6, s0
                                        ; implicit-def: $vgpr5
	s_delay_alu instid0(SALU_CYCLE_1)
	v_cmp_gt_u32_e32 vcc_lo, s0, v0
	s_and_saveexec_b32 s4, vcc_lo
	s_cbranch_execz .LBB12_5
; %bb.4:
	global_load_d16_b16 v5, v[1:2], off
.LBB12_5:
	s_or_b32 exec_lo, exec_lo, s4
	v_or_b32_e32 v0, 0x400, v0
	s_delay_alu instid0(VALU_DEP_1) | instskip(NEXT) | instid1(VALU_DEP_1)
	v_cmp_gt_u32_e64 s0, s0, v0
	s_and_saveexec_b32 s4, s0
	s_cbranch_execnz .LBB12_13
; %bb.6:
	s_or_b32 exec_lo, exec_lo, s4
	s_and_saveexec_b32 s4, vcc_lo
	s_cbranch_execnz .LBB12_14
.LBB12_7:
	s_or_b32 exec_lo, exec_lo, s4
                                        ; implicit-def: $vgpr4
	s_and_saveexec_b32 s4, s0
	s_cbranch_execz .LBB12_9
.LBB12_8:
	s_waitcnt vmcnt(0)
	v_lshrrev_b32_e32 v4, 16, v5
	s_or_b32 s1, s1, exec_lo
.LBB12_9:
	s_or_b32 exec_lo, exec_lo, s4
.LBB12_10:
	s_and_saveexec_b32 s0, s1
	s_cbranch_execnz .LBB12_12
; %bb.11:
	s_nop 0
	s_sendmsg sendmsg(MSG_DEALLOC_VGPRS)
	s_endpgm
.LBB12_12:
	s_add_u32 s0, s2, s8
	s_addc_u32 s1, s3, s9
	s_waitcnt vmcnt(0)
	global_store_b16 v3, v4, s[0:1] offset:2048
	s_nop 0
	s_sendmsg sendmsg(MSG_DEALLOC_VGPRS)
	s_endpgm
.LBB12_13:
	global_load_d16_hi_b16 v5, v[1:2], off offset:2048
	s_or_b32 exec_lo, exec_lo, s4
	s_and_saveexec_b32 s4, vcc_lo
	s_cbranch_execz .LBB12_7
.LBB12_14:
	s_add_u32 s6, s2, s8
	s_addc_u32 s7, s3, s9
	s_waitcnt vmcnt(0)
	global_store_b16 v3, v5, s[6:7]
	s_or_b32 exec_lo, exec_lo, s4
                                        ; implicit-def: $vgpr4
	s_and_saveexec_b32 s4, s0
	s_cbranch_execnz .LBB12_8
	s_branch .LBB12_9
	.section	.rodata,"a",@progbits
	.p2align	6, 0x0
	.amdhsa_kernel _ZN7rocprim17ROCPRIM_304000_NS6detail16transform_kernelINS1_24wrapped_transform_configINS0_14default_configEtEEtPKtPtNS0_8identityItEEEEvT1_mT2_T3_
		.amdhsa_group_segment_fixed_size 0
		.amdhsa_private_segment_fixed_size 0
		.amdhsa_kernarg_size 288
		.amdhsa_user_sgpr_count 15
		.amdhsa_user_sgpr_dispatch_ptr 0
		.amdhsa_user_sgpr_queue_ptr 0
		.amdhsa_user_sgpr_kernarg_segment_ptr 1
		.amdhsa_user_sgpr_dispatch_id 0
		.amdhsa_user_sgpr_private_segment_size 0
		.amdhsa_wavefront_size32 1
		.amdhsa_uses_dynamic_stack 0
		.amdhsa_enable_private_segment 0
		.amdhsa_system_sgpr_workgroup_id_x 1
		.amdhsa_system_sgpr_workgroup_id_y 0
		.amdhsa_system_sgpr_workgroup_id_z 0
		.amdhsa_system_sgpr_workgroup_info 0
		.amdhsa_system_vgpr_workitem_id 0
		.amdhsa_next_free_vgpr 6
		.amdhsa_next_free_sgpr 16
		.amdhsa_reserve_vcc 1
		.amdhsa_float_round_mode_32 0
		.amdhsa_float_round_mode_16_64 0
		.amdhsa_float_denorm_mode_32 3
		.amdhsa_float_denorm_mode_16_64 3
		.amdhsa_dx10_clamp 1
		.amdhsa_ieee_mode 1
		.amdhsa_fp16_overflow 0
		.amdhsa_workgroup_processor_mode 1
		.amdhsa_memory_ordered 1
		.amdhsa_forward_progress 0
		.amdhsa_shared_vgpr_count 0
		.amdhsa_exception_fp_ieee_invalid_op 0
		.amdhsa_exception_fp_denorm_src 0
		.amdhsa_exception_fp_ieee_div_zero 0
		.amdhsa_exception_fp_ieee_overflow 0
		.amdhsa_exception_fp_ieee_underflow 0
		.amdhsa_exception_fp_ieee_inexact 0
		.amdhsa_exception_int_div_zero 0
	.end_amdhsa_kernel
	.section	.text._ZN7rocprim17ROCPRIM_304000_NS6detail16transform_kernelINS1_24wrapped_transform_configINS0_14default_configEtEEtPKtPtNS0_8identityItEEEEvT1_mT2_T3_,"axG",@progbits,_ZN7rocprim17ROCPRIM_304000_NS6detail16transform_kernelINS1_24wrapped_transform_configINS0_14default_configEtEEtPKtPtNS0_8identityItEEEEvT1_mT2_T3_,comdat
.Lfunc_end12:
	.size	_ZN7rocprim17ROCPRIM_304000_NS6detail16transform_kernelINS1_24wrapped_transform_configINS0_14default_configEtEEtPKtPtNS0_8identityItEEEEvT1_mT2_T3_, .Lfunc_end12-_ZN7rocprim17ROCPRIM_304000_NS6detail16transform_kernelINS1_24wrapped_transform_configINS0_14default_configEtEEtPKtPtNS0_8identityItEEEEvT1_mT2_T3_
                                        ; -- End function
	.section	.AMDGPU.csdata,"",@progbits
; Kernel info:
; codeLenInByte = 360
; NumSgprs: 18
; NumVgprs: 6
; ScratchSize: 0
; MemoryBound: 0
; FloatMode: 240
; IeeeMode: 1
; LDSByteSize: 0 bytes/workgroup (compile time only)
; SGPRBlocks: 2
; VGPRBlocks: 0
; NumSGPRsForWavesPerEU: 18
; NumVGPRsForWavesPerEU: 6
; Occupancy: 16
; WaveLimiterHint : 1
; COMPUTE_PGM_RSRC2:SCRATCH_EN: 0
; COMPUTE_PGM_RSRC2:USER_SGPR: 15
; COMPUTE_PGM_RSRC2:TRAP_HANDLER: 0
; COMPUTE_PGM_RSRC2:TGID_X_EN: 1
; COMPUTE_PGM_RSRC2:TGID_Y_EN: 0
; COMPUTE_PGM_RSRC2:TGID_Z_EN: 0
; COMPUTE_PGM_RSRC2:TIDIG_COMP_CNT: 0
	.section	.text._ZN7rocprim17ROCPRIM_304000_NS6detail16transform_kernelINS1_24wrapped_transform_configINS0_14default_configEN2at4cuda3cub6detail10OpaqueTypeILi8EEEEESA_PKSA_PSA_NS0_8identityISA_EEEEvT1_mT2_T3_,"axG",@progbits,_ZN7rocprim17ROCPRIM_304000_NS6detail16transform_kernelINS1_24wrapped_transform_configINS0_14default_configEN2at4cuda3cub6detail10OpaqueTypeILi8EEEEESA_PKSA_PSA_NS0_8identityISA_EEEEvT1_mT2_T3_,comdat
	.protected	_ZN7rocprim17ROCPRIM_304000_NS6detail16transform_kernelINS1_24wrapped_transform_configINS0_14default_configEN2at4cuda3cub6detail10OpaqueTypeILi8EEEEESA_PKSA_PSA_NS0_8identityISA_EEEEvT1_mT2_T3_ ; -- Begin function _ZN7rocprim17ROCPRIM_304000_NS6detail16transform_kernelINS1_24wrapped_transform_configINS0_14default_configEN2at4cuda3cub6detail10OpaqueTypeILi8EEEEESA_PKSA_PSA_NS0_8identityISA_EEEEvT1_mT2_T3_
	.globl	_ZN7rocprim17ROCPRIM_304000_NS6detail16transform_kernelINS1_24wrapped_transform_configINS0_14default_configEN2at4cuda3cub6detail10OpaqueTypeILi8EEEEESA_PKSA_PSA_NS0_8identityISA_EEEEvT1_mT2_T3_
	.p2align	8
	.type	_ZN7rocprim17ROCPRIM_304000_NS6detail16transform_kernelINS1_24wrapped_transform_configINS0_14default_configEN2at4cuda3cub6detail10OpaqueTypeILi8EEEEESA_PKSA_PSA_NS0_8identityISA_EEEEvT1_mT2_T3_,@function
_ZN7rocprim17ROCPRIM_304000_NS6detail16transform_kernelINS1_24wrapped_transform_configINS0_14default_configEN2at4cuda3cub6detail10OpaqueTypeILi8EEEEESA_PKSA_PSA_NS0_8identityISA_EEEEvT1_mT2_T3_: ; @_ZN7rocprim17ROCPRIM_304000_NS6detail16transform_kernelINS1_24wrapped_transform_configINS0_14default_configEN2at4cuda3cub6detail10OpaqueTypeILi8EEEEESA_PKSA_PSA_NS0_8identityISA_EEEEvT1_mT2_T3_
; %bb.0:
	s_clause 0x2
	s_load_b32 s3, s[0:1], 0x20
	s_load_b128 s[4:7], s[0:1], 0x0
	s_load_b64 s[0:1], s[0:1], 0x10
	v_lshlrev_b32_e32 v2, 3, v0
	s_lshl_b32 s2, s15, 9
	s_waitcnt lgkmcnt(0)
	s_add_i32 s7, s3, -1
	s_mov_b32 s3, 0
	s_cmp_lg_u32 s15, s7
	s_mov_b32 s7, -1
	s_cbranch_scc0 .LBB13_2
; %bb.1:
	s_lshl_b64 s[8:9], s[2:3], 3
	s_mov_b32 s7, s3
	s_add_u32 s10, s4, s8
	s_addc_u32 s11, s5, s9
	s_add_u32 s8, s0, s8
	global_load_b64 v[3:4], v2, s[10:11]
	s_addc_u32 s9, s1, s9
	s_waitcnt vmcnt(0)
	global_store_b64 v2, v[3:4], s[8:9]
.LBB13_2:
	s_and_not1_b32 vcc_lo, exec_lo, s7
	s_cbranch_vccnz .LBB13_7
; %bb.3:
	s_sub_i32 s6, s6, s2
	s_delay_alu instid0(SALU_CYCLE_1)
	v_cmp_gt_u32_e32 vcc_lo, s6, v0
                                        ; implicit-def: $vgpr0_vgpr1
	s_and_saveexec_b32 s6, vcc_lo
	s_cbranch_execz .LBB13_5
; %bb.4:
	s_lshl_b64 s[8:9], s[2:3], 3
	s_delay_alu instid0(SALU_CYCLE_1)
	s_add_u32 s4, s4, s8
	s_addc_u32 s5, s5, s9
	global_load_b64 v[0:1], v2, s[4:5]
.LBB13_5:
	s_or_b32 exec_lo, exec_lo, s6
	s_and_saveexec_b32 s4, vcc_lo
	s_cbranch_execz .LBB13_7
; %bb.6:
	s_lshl_b64 s[2:3], s[2:3], 3
	s_delay_alu instid0(SALU_CYCLE_1)
	s_add_u32 s0, s0, s2
	s_addc_u32 s1, s1, s3
	s_waitcnt vmcnt(0)
	global_store_b64 v2, v[0:1], s[0:1]
.LBB13_7:
	s_nop 0
	s_sendmsg sendmsg(MSG_DEALLOC_VGPRS)
	s_endpgm
	.section	.rodata,"a",@progbits
	.p2align	6, 0x0
	.amdhsa_kernel _ZN7rocprim17ROCPRIM_304000_NS6detail16transform_kernelINS1_24wrapped_transform_configINS0_14default_configEN2at4cuda3cub6detail10OpaqueTypeILi8EEEEESA_PKSA_PSA_NS0_8identityISA_EEEEvT1_mT2_T3_
		.amdhsa_group_segment_fixed_size 0
		.amdhsa_private_segment_fixed_size 0
		.amdhsa_kernarg_size 288
		.amdhsa_user_sgpr_count 15
		.amdhsa_user_sgpr_dispatch_ptr 0
		.amdhsa_user_sgpr_queue_ptr 0
		.amdhsa_user_sgpr_kernarg_segment_ptr 1
		.amdhsa_user_sgpr_dispatch_id 0
		.amdhsa_user_sgpr_private_segment_size 0
		.amdhsa_wavefront_size32 1
		.amdhsa_uses_dynamic_stack 0
		.amdhsa_enable_private_segment 0
		.amdhsa_system_sgpr_workgroup_id_x 1
		.amdhsa_system_sgpr_workgroup_id_y 0
		.amdhsa_system_sgpr_workgroup_id_z 0
		.amdhsa_system_sgpr_workgroup_info 0
		.amdhsa_system_vgpr_workitem_id 0
		.amdhsa_next_free_vgpr 5
		.amdhsa_next_free_sgpr 16
		.amdhsa_reserve_vcc 1
		.amdhsa_float_round_mode_32 0
		.amdhsa_float_round_mode_16_64 0
		.amdhsa_float_denorm_mode_32 3
		.amdhsa_float_denorm_mode_16_64 3
		.amdhsa_dx10_clamp 1
		.amdhsa_ieee_mode 1
		.amdhsa_fp16_overflow 0
		.amdhsa_workgroup_processor_mode 1
		.amdhsa_memory_ordered 1
		.amdhsa_forward_progress 0
		.amdhsa_shared_vgpr_count 0
		.amdhsa_exception_fp_ieee_invalid_op 0
		.amdhsa_exception_fp_denorm_src 0
		.amdhsa_exception_fp_ieee_div_zero 0
		.amdhsa_exception_fp_ieee_overflow 0
		.amdhsa_exception_fp_ieee_underflow 0
		.amdhsa_exception_fp_ieee_inexact 0
		.amdhsa_exception_int_div_zero 0
	.end_amdhsa_kernel
	.section	.text._ZN7rocprim17ROCPRIM_304000_NS6detail16transform_kernelINS1_24wrapped_transform_configINS0_14default_configEN2at4cuda3cub6detail10OpaqueTypeILi8EEEEESA_PKSA_PSA_NS0_8identityISA_EEEEvT1_mT2_T3_,"axG",@progbits,_ZN7rocprim17ROCPRIM_304000_NS6detail16transform_kernelINS1_24wrapped_transform_configINS0_14default_configEN2at4cuda3cub6detail10OpaqueTypeILi8EEEEESA_PKSA_PSA_NS0_8identityISA_EEEEvT1_mT2_T3_,comdat
.Lfunc_end13:
	.size	_ZN7rocprim17ROCPRIM_304000_NS6detail16transform_kernelINS1_24wrapped_transform_configINS0_14default_configEN2at4cuda3cub6detail10OpaqueTypeILi8EEEEESA_PKSA_PSA_NS0_8identityISA_EEEEvT1_mT2_T3_, .Lfunc_end13-_ZN7rocprim17ROCPRIM_304000_NS6detail16transform_kernelINS1_24wrapped_transform_configINS0_14default_configEN2at4cuda3cub6detail10OpaqueTypeILi8EEEEESA_PKSA_PSA_NS0_8identityISA_EEEEvT1_mT2_T3_
                                        ; -- End function
	.section	.AMDGPU.csdata,"",@progbits
; Kernel info:
; codeLenInByte = 208
; NumSgprs: 18
; NumVgprs: 5
; ScratchSize: 0
; MemoryBound: 0
; FloatMode: 240
; IeeeMode: 1
; LDSByteSize: 0 bytes/workgroup (compile time only)
; SGPRBlocks: 2
; VGPRBlocks: 0
; NumSGPRsForWavesPerEU: 18
; NumVGPRsForWavesPerEU: 5
; Occupancy: 16
; WaveLimiterHint : 0
; COMPUTE_PGM_RSRC2:SCRATCH_EN: 0
; COMPUTE_PGM_RSRC2:USER_SGPR: 15
; COMPUTE_PGM_RSRC2:TRAP_HANDLER: 0
; COMPUTE_PGM_RSRC2:TGID_X_EN: 1
; COMPUTE_PGM_RSRC2:TGID_Y_EN: 0
; COMPUTE_PGM_RSRC2:TGID_Z_EN: 0
; COMPUTE_PGM_RSRC2:TIDIG_COMP_CNT: 0
	.section	.text._ZN7rocprim17ROCPRIM_304000_NS6detail25onesweep_iteration_kernelINS1_34wrapped_radix_sort_onesweep_configINS0_14default_configEtN2at4cuda3cub6detail10OpaqueTypeILi8EEEEELb1EPKtPtPKSA_PSA_mNS0_19identity_decomposerEEEvT1_T2_T3_T4_jPT5_SO_PNS1_23onesweep_lookback_stateET6_jjj,"axG",@progbits,_ZN7rocprim17ROCPRIM_304000_NS6detail25onesweep_iteration_kernelINS1_34wrapped_radix_sort_onesweep_configINS0_14default_configEtN2at4cuda3cub6detail10OpaqueTypeILi8EEEEELb1EPKtPtPKSA_PSA_mNS0_19identity_decomposerEEEvT1_T2_T3_T4_jPT5_SO_PNS1_23onesweep_lookback_stateET6_jjj,comdat
	.protected	_ZN7rocprim17ROCPRIM_304000_NS6detail25onesweep_iteration_kernelINS1_34wrapped_radix_sort_onesweep_configINS0_14default_configEtN2at4cuda3cub6detail10OpaqueTypeILi8EEEEELb1EPKtPtPKSA_PSA_mNS0_19identity_decomposerEEEvT1_T2_T3_T4_jPT5_SO_PNS1_23onesweep_lookback_stateET6_jjj ; -- Begin function _ZN7rocprim17ROCPRIM_304000_NS6detail25onesweep_iteration_kernelINS1_34wrapped_radix_sort_onesweep_configINS0_14default_configEtN2at4cuda3cub6detail10OpaqueTypeILi8EEEEELb1EPKtPtPKSA_PSA_mNS0_19identity_decomposerEEEvT1_T2_T3_T4_jPT5_SO_PNS1_23onesweep_lookback_stateET6_jjj
	.globl	_ZN7rocprim17ROCPRIM_304000_NS6detail25onesweep_iteration_kernelINS1_34wrapped_radix_sort_onesweep_configINS0_14default_configEtN2at4cuda3cub6detail10OpaqueTypeILi8EEEEELb1EPKtPtPKSA_PSA_mNS0_19identity_decomposerEEEvT1_T2_T3_T4_jPT5_SO_PNS1_23onesweep_lookback_stateET6_jjj
	.p2align	8
	.type	_ZN7rocprim17ROCPRIM_304000_NS6detail25onesweep_iteration_kernelINS1_34wrapped_radix_sort_onesweep_configINS0_14default_configEtN2at4cuda3cub6detail10OpaqueTypeILi8EEEEELb1EPKtPtPKSA_PSA_mNS0_19identity_decomposerEEEvT1_T2_T3_T4_jPT5_SO_PNS1_23onesweep_lookback_stateET6_jjj,@function
_ZN7rocprim17ROCPRIM_304000_NS6detail25onesweep_iteration_kernelINS1_34wrapped_radix_sort_onesweep_configINS0_14default_configEtN2at4cuda3cub6detail10OpaqueTypeILi8EEEEELb1EPKtPtPKSA_PSA_mNS0_19identity_decomposerEEEvT1_T2_T3_T4_jPT5_SO_PNS1_23onesweep_lookback_stateET6_jjj: ; @_ZN7rocprim17ROCPRIM_304000_NS6detail25onesweep_iteration_kernelINS1_34wrapped_radix_sort_onesweep_configINS0_14default_configEtN2at4cuda3cub6detail10OpaqueTypeILi8EEEEELb1EPKtPtPKSA_PSA_mNS0_19identity_decomposerEEEvT1_T2_T3_T4_jPT5_SO_PNS1_23onesweep_lookback_stateET6_jjj
; %bb.0:
	s_clause 0x3
	s_load_b128 s[28:31], s[0:1], 0x44
	s_load_b256 s[16:23], s[0:1], 0x0
	s_load_b128 s[24:27], s[0:1], 0x28
	s_load_b64 s[12:13], s[0:1], 0x38
	v_and_b32_e32 v1, 0x3ff, v0
	v_mbcnt_lo_u32_b32 v12, -1, 0
	s_waitcnt lgkmcnt(0)
	s_cmp_ge_u32 s15, s30
	s_cbranch_scc0 .LBB14_66
; %bb.1:
	s_load_b32 s6, s[0:1], 0x20
	s_mov_b32 s31, 0
	s_lshl_b32 s7, s30, 12
	s_mov_b32 s4, s31
	s_mov_b32 s5, s31
	v_lshlrev_b32_e32 v11, 2, v1
	s_lshl_b32 s30, s15, 12
	v_lshlrev_b32_e32 v2, 1, v12
	s_lshl_b64 s[2:3], s[30:31], 1
	s_delay_alu instid0(VALU_DEP_2) | instskip(NEXT) | instid1(VALU_DEP_1)
	v_and_b32_e32 v10, 0xf80, v11
	v_lshlrev_b32_e32 v3, 1, v10
	s_waitcnt lgkmcnt(0)
	s_sub_i32 s34, s6, s7
	s_add_u32 s2, s16, s2
	s_addc_u32 s3, s17, s3
	v_add_co_u32 v2, s2, s2, v2
	s_delay_alu instid0(VALU_DEP_1) | instskip(NEXT) | instid1(VALU_DEP_2)
	v_add_co_ci_u32_e64 v5, null, s3, 0, s2
	v_add_co_u32 v4, s2, v2, v3
	v_dual_mov_b32 v2, s4 :: v_dual_mov_b32 v3, s5
	v_or_b32_e32 v6, v12, v10
	s_delay_alu instid0(VALU_DEP_4) | instskip(NEXT) | instid1(VALU_DEP_2)
	v_add_co_ci_u32_e64 v5, s2, 0, v5, s2
	v_cmp_gt_u32_e32 vcc_lo, s34, v6
	s_and_saveexec_b32 s2, vcc_lo
	s_cbranch_execz .LBB14_3
; %bb.2:
	v_dual_mov_b32 v2, 0 :: v_dual_mov_b32 v3, 0
	global_load_d16_b16 v2, v[4:5], off
.LBB14_3:
	s_or_b32 exec_lo, exec_lo, s2
	v_add_nc_u32_e32 v7, 32, v6
	s_delay_alu instid0(VALU_DEP_1) | instskip(NEXT) | instid1(VALU_DEP_1)
	v_cmp_gt_u32_e64 s2, s34, v7
	s_and_saveexec_b32 s3, s2
	s_cbranch_execz .LBB14_5
; %bb.4:
	global_load_d16_hi_b16 v2, v[4:5], off offset:64
.LBB14_5:
	s_or_b32 exec_lo, exec_lo, s3
	v_add_nc_u32_e32 v7, 64, v6
	s_delay_alu instid0(VALU_DEP_1) | instskip(NEXT) | instid1(VALU_DEP_1)
	v_cmp_gt_u32_e64 s3, s34, v7
	s_and_saveexec_b32 s4, s3
	s_cbranch_execz .LBB14_7
; %bb.6:
	global_load_d16_b16 v3, v[4:5], off offset:128
.LBB14_7:
	s_or_b32 exec_lo, exec_lo, s4
	v_add_nc_u32_e32 v6, 0x60, v6
	s_delay_alu instid0(VALU_DEP_1) | instskip(NEXT) | instid1(VALU_DEP_1)
	v_cmp_gt_u32_e64 s4, s34, v6
	s_and_saveexec_b32 s5, s4
	s_cbranch_execz .LBB14_9
; %bb.8:
	global_load_d16_hi_b16 v3, v[4:5], off offset:192
.LBB14_9:
	s_or_b32 exec_lo, exec_lo, s5
	s_clause 0x1
	s_load_b32 s5, s[0:1], 0x5c
	s_load_b32 s14, s[0:1], 0x50
	s_waitcnt vmcnt(0)
	v_xor_b32_e32 v13, -1, v2
	s_add_u32 s6, s0, 0x50
	s_addc_u32 s7, s1, 0
	s_delay_alu instid0(VALU_DEP_1) | instskip(NEXT) | instid1(VALU_DEP_1)
	v_and_b32_e32 v4, 0xffff, v13
	v_lshrrev_b32_e32 v4, s28, v4
	s_waitcnt lgkmcnt(0)
	s_lshr_b32 s8, s5, 16
	s_cmp_lt_u32 s15, s14
	s_cselect_b32 s5, 12, 18
	s_delay_alu instid0(SALU_CYCLE_1) | instskip(SKIP_2) | instid1(SALU_CYCLE_1)
	s_add_u32 s6, s6, s5
	s_addc_u32 s7, s7, 0
	s_lshl_b32 s5, -1, s29
	s_not_b32 s33, s5
	s_delay_alu instid0(SALU_CYCLE_1) | instskip(SKIP_2) | instid1(VALU_DEP_3)
	v_and_b32_e32 v8, s33, v4
	v_mov_b32_e32 v6, 0
	v_bfe_u32 v4, v0, 10, 10
	v_and_b32_e32 v5, 1, v8
	global_load_u16 v7, v6, s[6:7]
	v_lshlrev_b32_e32 v9, 30, v8
	v_lshlrev_b32_e32 v14, 29, v8
	;; [unrolled: 1-line block ×3, first 2 shown]
	v_add_co_u32 v5, s5, v5, -1
	s_delay_alu instid0(VALU_DEP_1)
	v_cndmask_b32_e64 v16, 0, 1, s5
	v_not_b32_e32 v20, v9
	v_cmp_gt_i32_e64 s6, 0, v9
	v_not_b32_e32 v9, v14
	v_lshlrev_b32_e32 v17, 27, v8
	v_cmp_ne_u32_e64 s5, 0, v16
	v_ashrrev_i32_e32 v20, 31, v20
	v_lshlrev_b32_e32 v18, 26, v8
	v_ashrrev_i32_e32 v9, 31, v9
	v_lshlrev_b32_e32 v19, 25, v8
	v_xor_b32_e32 v5, s5, v5
	v_cmp_gt_i32_e64 s5, 0, v14
	v_not_b32_e32 v14, v15
	v_xor_b32_e32 v20, s6, v20
	v_cmp_gt_i32_e64 s6, 0, v15
	v_and_b32_e32 v5, exec_lo, v5
	v_not_b32_e32 v15, v17
	v_ashrrev_i32_e32 v14, 31, v14
	v_xor_b32_e32 v9, s5, v9
	v_cmp_gt_i32_e64 s5, 0, v17
	v_and_b32_e32 v5, v5, v20
	v_not_b32_e32 v17, v18
	v_ashrrev_i32_e32 v15, 31, v15
	v_xor_b32_e32 v14, s6, v14
	v_lshlrev_b32_e32 v16, 24, v8
	v_and_b32_e32 v5, v5, v9
	v_cmp_gt_i32_e64 s6, 0, v18
	v_not_b32_e32 v9, v19
	v_ashrrev_i32_e32 v17, 31, v17
	v_xor_b32_e32 v15, s5, v15
	v_and_b32_e32 v5, v5, v14
	v_cmp_gt_i32_e64 s5, 0, v19
	v_not_b32_e32 v14, v16
	v_ashrrev_i32_e32 v9, 31, v9
	v_xor_b32_e32 v17, s6, v17
	v_and_b32_e32 v5, v5, v15
	v_bfe_u32 v15, v0, 20, 10
	v_cmp_gt_i32_e64 s6, 0, v16
	v_ashrrev_i32_e32 v14, 31, v14
	v_xor_b32_e32 v9, s5, v9
	v_and_b32_e32 v5, v5, v17
	v_mad_u32_u24 v15, v15, s8, v4
	v_mul_u32_u24_e32 v16, 9, v1
	v_xor_b32_e32 v14, s6, v14
	s_delay_alu instid0(VALU_DEP_4) | instskip(NEXT) | instid1(VALU_DEP_3)
	v_and_b32_e32 v9, v5, v9
	v_lshlrev_b32_e32 v16, 2, v16
	ds_store_2addr_b32 v16, v6, v6 offset0:32 offset1:33
	ds_store_2addr_b32 v16, v6, v6 offset0:34 offset1:35
	;; [unrolled: 1-line block ×4, first 2 shown]
	ds_store_b32 v16, v6 offset:160
	v_mul_u32_u24_e32 v6, 33, v8
	s_waitcnt vmcnt(0) lgkmcnt(0)
	s_barrier
	buffer_gl0_inv
	; wave barrier
	v_mad_u64_u32 v[4:5], null, v15, v7, v[1:2]
	v_and_b32_e32 v5, v9, v14
	s_delay_alu instid0(VALU_DEP_1) | instskip(NEXT) | instid1(VALU_DEP_3)
	v_mbcnt_lo_u32_b32 v14, v5, 0
	v_lshrrev_b32_e32 v4, 5, v4
	v_cmp_ne_u32_e64 s6, 0, v5
	s_delay_alu instid0(VALU_DEP_3) | instskip(NEXT) | instid1(VALU_DEP_3)
	v_cmp_eq_u32_e64 s5, 0, v14
	v_add_lshl_u32 v17, v4, v6, 2
	s_delay_alu instid0(VALU_DEP_2) | instskip(NEXT) | instid1(SALU_CYCLE_1)
	s_and_b32 s6, s6, s5
	s_and_saveexec_b32 s5, s6
	s_cbranch_execz .LBB14_11
; %bb.10:
	v_bcnt_u32_b32 v5, v5, 0
	ds_store_b32 v17, v5 offset:128
.LBB14_11:
	s_or_b32 exec_lo, exec_lo, s5
	v_lshrrev_b32_e32 v2, 16, v2
	; wave barrier
	s_delay_alu instid0(VALU_DEP_1) | instskip(NEXT) | instid1(VALU_DEP_1)
	v_xor_b32_e32 v15, -1, v2
	v_and_b32_e32 v2, 0xffff, v15
	s_delay_alu instid0(VALU_DEP_1) | instskip(NEXT) | instid1(VALU_DEP_1)
	v_lshrrev_b32_e32 v2, s28, v2
	v_and_b32_e32 v2, s33, v2
	s_delay_alu instid0(VALU_DEP_1)
	v_and_b32_e32 v5, 1, v2
	v_lshlrev_b32_e32 v6, 30, v2
	v_lshlrev_b32_e32 v7, 29, v2
	;; [unrolled: 1-line block ×4, first 2 shown]
	v_add_co_u32 v5, s5, v5, -1
	s_delay_alu instid0(VALU_DEP_1)
	v_cndmask_b32_e64 v9, 0, 1, s5
	v_not_b32_e32 v21, v6
	v_cmp_gt_i32_e64 s6, 0, v6
	v_not_b32_e32 v6, v7
	v_lshlrev_b32_e32 v19, 26, v2
	v_cmp_ne_u32_e64 s5, 0, v9
	v_ashrrev_i32_e32 v21, 31, v21
	v_lshlrev_b32_e32 v20, 25, v2
	v_ashrrev_i32_e32 v6, 31, v6
	v_lshlrev_b32_e32 v9, 24, v2
	v_xor_b32_e32 v5, s5, v5
	v_cmp_gt_i32_e64 s5, 0, v7
	v_not_b32_e32 v7, v8
	v_xor_b32_e32 v21, s6, v21
	v_cmp_gt_i32_e64 s6, 0, v8
	v_and_b32_e32 v5, exec_lo, v5
	v_not_b32_e32 v8, v18
	v_ashrrev_i32_e32 v7, 31, v7
	v_xor_b32_e32 v6, s5, v6
	v_cmp_gt_i32_e64 s5, 0, v18
	v_and_b32_e32 v5, v5, v21
	v_not_b32_e32 v18, v19
	v_ashrrev_i32_e32 v8, 31, v8
	v_xor_b32_e32 v7, s6, v7
	v_cmp_gt_i32_e64 s6, 0, v19
	v_and_b32_e32 v5, v5, v6
	;; [unrolled: 5-line block ×3, first 2 shown]
	v_not_b32_e32 v7, v9
	v_ashrrev_i32_e32 v6, 31, v6
	v_xor_b32_e32 v18, s6, v18
	v_mul_u32_u24_e32 v2, 33, v2
	v_and_b32_e32 v5, v5, v8
	v_cmp_gt_i32_e64 s6, 0, v9
	v_ashrrev_i32_e32 v7, 31, v7
	v_xor_b32_e32 v6, s5, v6
	v_add_lshl_u32 v21, v4, v2, 2
	v_and_b32_e32 v5, v5, v18
	s_delay_alu instid0(VALU_DEP_4) | instskip(SKIP_2) | instid1(VALU_DEP_1)
	v_xor_b32_e32 v2, s6, v7
	ds_load_b32 v18, v21 offset:128
	v_and_b32_e32 v5, v5, v6
	; wave barrier
	v_and_b32_e32 v2, v5, v2
	s_delay_alu instid0(VALU_DEP_1) | instskip(SKIP_1) | instid1(VALU_DEP_2)
	v_mbcnt_lo_u32_b32 v19, v2, 0
	v_cmp_ne_u32_e64 s6, 0, v2
	v_cmp_eq_u32_e64 s5, 0, v19
	s_delay_alu instid0(VALU_DEP_1) | instskip(NEXT) | instid1(SALU_CYCLE_1)
	s_and_b32 s6, s6, s5
	s_and_saveexec_b32 s5, s6
	s_cbranch_execz .LBB14_13
; %bb.12:
	s_waitcnt lgkmcnt(0)
	v_bcnt_u32_b32 v2, v2, v18
	ds_store_b32 v21, v2 offset:128
.LBB14_13:
	s_or_b32 exec_lo, exec_lo, s5
	v_xor_b32_e32 v20, -1, v3
	; wave barrier
	s_delay_alu instid0(VALU_DEP_1) | instskip(NEXT) | instid1(VALU_DEP_1)
	v_and_b32_e32 v2, 0xffff, v20
	v_lshrrev_b32_e32 v2, s28, v2
	s_delay_alu instid0(VALU_DEP_1) | instskip(NEXT) | instid1(VALU_DEP_1)
	v_and_b32_e32 v2, s33, v2
	v_and_b32_e32 v5, 1, v2
	v_lshlrev_b32_e32 v6, 30, v2
	v_lshlrev_b32_e32 v7, 29, v2
	;; [unrolled: 1-line block ×4, first 2 shown]
	v_add_co_u32 v5, s5, v5, -1
	s_delay_alu instid0(VALU_DEP_1)
	v_cndmask_b32_e64 v9, 0, 1, s5
	v_not_b32_e32 v25, v6
	v_cmp_gt_i32_e64 s6, 0, v6
	v_not_b32_e32 v6, v7
	v_lshlrev_b32_e32 v23, 26, v2
	v_cmp_ne_u32_e64 s5, 0, v9
	v_ashrrev_i32_e32 v25, 31, v25
	v_lshlrev_b32_e32 v24, 25, v2
	v_ashrrev_i32_e32 v6, 31, v6
	v_lshlrev_b32_e32 v9, 24, v2
	v_xor_b32_e32 v5, s5, v5
	v_cmp_gt_i32_e64 s5, 0, v7
	v_not_b32_e32 v7, v8
	v_xor_b32_e32 v25, s6, v25
	v_cmp_gt_i32_e64 s6, 0, v8
	v_and_b32_e32 v5, exec_lo, v5
	v_not_b32_e32 v8, v22
	v_ashrrev_i32_e32 v7, 31, v7
	v_xor_b32_e32 v6, s5, v6
	v_cmp_gt_i32_e64 s5, 0, v22
	v_and_b32_e32 v5, v5, v25
	v_not_b32_e32 v22, v23
	v_ashrrev_i32_e32 v8, 31, v8
	v_xor_b32_e32 v7, s6, v7
	v_cmp_gt_i32_e64 s6, 0, v23
	v_and_b32_e32 v5, v5, v6
	;; [unrolled: 5-line block ×3, first 2 shown]
	v_not_b32_e32 v7, v9
	v_ashrrev_i32_e32 v6, 31, v6
	v_xor_b32_e32 v22, s6, v22
	v_mul_u32_u24_e32 v2, 33, v2
	v_and_b32_e32 v5, v5, v8
	v_cmp_gt_i32_e64 s6, 0, v9
	v_ashrrev_i32_e32 v7, 31, v7
	v_xor_b32_e32 v6, s5, v6
	v_add_lshl_u32 v25, v4, v2, 2
	v_and_b32_e32 v5, v5, v22
	s_delay_alu instid0(VALU_DEP_4) | instskip(SKIP_2) | instid1(VALU_DEP_1)
	v_xor_b32_e32 v2, s6, v7
	ds_load_b32 v22, v25 offset:128
	v_and_b32_e32 v5, v5, v6
	; wave barrier
	v_and_b32_e32 v2, v5, v2
	s_delay_alu instid0(VALU_DEP_1) | instskip(SKIP_1) | instid1(VALU_DEP_2)
	v_mbcnt_lo_u32_b32 v23, v2, 0
	v_cmp_ne_u32_e64 s6, 0, v2
	v_cmp_eq_u32_e64 s5, 0, v23
	s_delay_alu instid0(VALU_DEP_1) | instskip(NEXT) | instid1(SALU_CYCLE_1)
	s_and_b32 s6, s6, s5
	s_and_saveexec_b32 s5, s6
	s_cbranch_execz .LBB14_15
; %bb.14:
	s_waitcnt lgkmcnt(0)
	v_bcnt_u32_b32 v2, v2, v22
	ds_store_b32 v25, v2 offset:128
.LBB14_15:
	s_or_b32 exec_lo, exec_lo, s5
	v_lshrrev_b32_e32 v2, 16, v3
	; wave barrier
	v_add_nc_u32_e32 v29, 0x80, v16
	s_delay_alu instid0(VALU_DEP_2) | instskip(NEXT) | instid1(VALU_DEP_1)
	v_xor_b32_e32 v24, -1, v2
	v_and_b32_e32 v2, 0xffff, v24
	s_delay_alu instid0(VALU_DEP_1) | instskip(NEXT) | instid1(VALU_DEP_1)
	v_lshrrev_b32_e32 v2, s28, v2
	v_and_b32_e32 v2, s33, v2
	s_delay_alu instid0(VALU_DEP_1)
	v_and_b32_e32 v3, 1, v2
	v_lshlrev_b32_e32 v5, 30, v2
	v_lshlrev_b32_e32 v6, 29, v2
	;; [unrolled: 1-line block ×4, first 2 shown]
	v_add_co_u32 v3, s5, v3, -1
	s_delay_alu instid0(VALU_DEP_1)
	v_cndmask_b32_e64 v8, 0, 1, s5
	v_not_b32_e32 v28, v5
	v_cmp_gt_i32_e64 s6, 0, v5
	v_not_b32_e32 v5, v6
	v_lshlrev_b32_e32 v26, 26, v2
	v_cmp_ne_u32_e64 s5, 0, v8
	v_ashrrev_i32_e32 v28, 31, v28
	v_lshlrev_b32_e32 v27, 25, v2
	v_ashrrev_i32_e32 v5, 31, v5
	v_lshlrev_b32_e32 v8, 24, v2
	v_xor_b32_e32 v3, s5, v3
	v_cmp_gt_i32_e64 s5, 0, v6
	v_not_b32_e32 v6, v7
	v_xor_b32_e32 v28, s6, v28
	v_cmp_gt_i32_e64 s6, 0, v7
	v_and_b32_e32 v3, exec_lo, v3
	v_not_b32_e32 v7, v9
	v_ashrrev_i32_e32 v6, 31, v6
	v_xor_b32_e32 v5, s5, v5
	v_cmp_gt_i32_e64 s5, 0, v9
	v_and_b32_e32 v3, v3, v28
	v_not_b32_e32 v9, v26
	v_ashrrev_i32_e32 v7, 31, v7
	v_xor_b32_e32 v6, s6, v6
	v_cmp_gt_i32_e64 s6, 0, v26
	v_and_b32_e32 v3, v3, v5
	;; [unrolled: 5-line block ×3, first 2 shown]
	v_not_b32_e32 v6, v8
	v_ashrrev_i32_e32 v5, 31, v5
	v_xor_b32_e32 v9, s6, v9
	v_mul_u32_u24_e32 v2, 33, v2
	v_and_b32_e32 v3, v3, v7
	v_cmp_gt_i32_e64 s6, 0, v8
	v_ashrrev_i32_e32 v6, 31, v6
	v_xor_b32_e32 v5, s5, v5
	v_add_lshl_u32 v28, v4, v2, 2
	v_and_b32_e32 v3, v3, v9
	s_delay_alu instid0(VALU_DEP_4) | instskip(SKIP_2) | instid1(VALU_DEP_1)
	v_xor_b32_e32 v2, s6, v6
	ds_load_b32 v26, v28 offset:128
	v_and_b32_e32 v3, v3, v5
	; wave barrier
	v_and_b32_e32 v2, v3, v2
	s_delay_alu instid0(VALU_DEP_1) | instskip(SKIP_1) | instid1(VALU_DEP_2)
	v_mbcnt_lo_u32_b32 v27, v2, 0
	v_cmp_ne_u32_e64 s6, 0, v2
	v_cmp_eq_u32_e64 s5, 0, v27
	s_delay_alu instid0(VALU_DEP_1) | instskip(NEXT) | instid1(SALU_CYCLE_1)
	s_and_b32 s6, s6, s5
	s_and_saveexec_b32 s5, s6
	s_cbranch_execz .LBB14_17
; %bb.16:
	s_waitcnt lgkmcnt(0)
	v_bcnt_u32_b32 v2, v2, v26
	ds_store_b32 v28, v2 offset:128
.LBB14_17:
	s_or_b32 exec_lo, exec_lo, s5
	; wave barrier
	s_waitcnt lgkmcnt(0)
	s_barrier
	buffer_gl0_inv
	ds_load_2addr_b32 v[8:9], v16 offset0:32 offset1:33
	ds_load_2addr_b32 v[6:7], v29 offset0:2 offset1:3
	;; [unrolled: 1-line block ×4, first 2 shown]
	ds_load_b32 v30, v29 offset:32
	v_and_b32_e32 v33, 16, v12
	v_and_b32_e32 v34, 31, v1
	s_mov_b32 s11, exec_lo
	s_delay_alu instid0(VALU_DEP_2) | instskip(SKIP_3) | instid1(VALU_DEP_1)
	v_cmp_eq_u32_e64 s9, 0, v33
	s_waitcnt lgkmcnt(3)
	v_add3_u32 v31, v9, v8, v6
	s_waitcnt lgkmcnt(2)
	v_add3_u32 v31, v31, v7, v4
	s_waitcnt lgkmcnt(1)
	s_delay_alu instid0(VALU_DEP_1) | instskip(SKIP_1) | instid1(VALU_DEP_1)
	v_add3_u32 v31, v31, v5, v2
	s_waitcnt lgkmcnt(0)
	v_add3_u32 v30, v31, v3, v30
	v_and_b32_e32 v31, 15, v12
	s_delay_alu instid0(VALU_DEP_2) | instskip(NEXT) | instid1(VALU_DEP_2)
	v_mov_b32_dpp v32, v30 row_shr:1 row_mask:0xf bank_mask:0xf
	v_cmp_eq_u32_e64 s5, 0, v31
	v_cmp_lt_u32_e64 s6, 1, v31
	v_cmp_lt_u32_e64 s7, 3, v31
	;; [unrolled: 1-line block ×3, first 2 shown]
	s_delay_alu instid0(VALU_DEP_4) | instskip(NEXT) | instid1(VALU_DEP_1)
	v_cndmask_b32_e64 v32, v32, 0, s5
	v_add_nc_u32_e32 v30, v32, v30
	s_delay_alu instid0(VALU_DEP_1) | instskip(NEXT) | instid1(VALU_DEP_1)
	v_mov_b32_dpp v32, v30 row_shr:2 row_mask:0xf bank_mask:0xf
	v_cndmask_b32_e64 v32, 0, v32, s6
	s_delay_alu instid0(VALU_DEP_1) | instskip(NEXT) | instid1(VALU_DEP_1)
	v_add_nc_u32_e32 v30, v30, v32
	v_mov_b32_dpp v32, v30 row_shr:4 row_mask:0xf bank_mask:0xf
	s_delay_alu instid0(VALU_DEP_1) | instskip(NEXT) | instid1(VALU_DEP_1)
	v_cndmask_b32_e64 v32, 0, v32, s7
	v_add_nc_u32_e32 v30, v30, v32
	s_delay_alu instid0(VALU_DEP_1) | instskip(NEXT) | instid1(VALU_DEP_1)
	v_mov_b32_dpp v32, v30 row_shr:8 row_mask:0xf bank_mask:0xf
	v_cndmask_b32_e64 v31, 0, v32, s8
	v_bfe_i32 v32, v12, 4, 1
	s_delay_alu instid0(VALU_DEP_2) | instskip(SKIP_4) | instid1(VALU_DEP_2)
	v_add_nc_u32_e32 v30, v30, v31
	ds_swizzle_b32 v31, v30 offset:swizzle(BROADCAST,32,15)
	s_waitcnt lgkmcnt(0)
	v_and_b32_e32 v32, v32, v31
	v_lshrrev_b32_e32 v31, 5, v1
	v_add_nc_u32_e32 v30, v30, v32
	v_cmpx_eq_u32_e32 31, v34
	s_cbranch_execz .LBB14_19
; %bb.18:
	s_delay_alu instid0(VALU_DEP_3)
	v_lshlrev_b32_e32 v32, 2, v31
	ds_store_b32 v32, v30
.LBB14_19:
	s_or_b32 exec_lo, exec_lo, s11
	v_cmp_lt_u32_e64 s10, 31, v1
	s_mov_b32 s35, exec_lo
	s_waitcnt lgkmcnt(0)
	s_barrier
	buffer_gl0_inv
	v_cmpx_gt_u32_e32 32, v1
	s_cbranch_execz .LBB14_21
; %bb.20:
	ds_load_b32 v32, v11
	s_waitcnt lgkmcnt(0)
	v_mov_b32_dpp v33, v32 row_shr:1 row_mask:0xf bank_mask:0xf
	s_delay_alu instid0(VALU_DEP_1) | instskip(NEXT) | instid1(VALU_DEP_1)
	v_cndmask_b32_e64 v33, v33, 0, s5
	v_add_nc_u32_e32 v32, v33, v32
	s_delay_alu instid0(VALU_DEP_1) | instskip(NEXT) | instid1(VALU_DEP_1)
	v_mov_b32_dpp v33, v32 row_shr:2 row_mask:0xf bank_mask:0xf
	v_cndmask_b32_e64 v33, 0, v33, s6
	s_delay_alu instid0(VALU_DEP_1) | instskip(NEXT) | instid1(VALU_DEP_1)
	v_add_nc_u32_e32 v32, v32, v33
	v_mov_b32_dpp v33, v32 row_shr:4 row_mask:0xf bank_mask:0xf
	s_delay_alu instid0(VALU_DEP_1) | instskip(NEXT) | instid1(VALU_DEP_1)
	v_cndmask_b32_e64 v33, 0, v33, s7
	v_add_nc_u32_e32 v32, v32, v33
	s_delay_alu instid0(VALU_DEP_1) | instskip(NEXT) | instid1(VALU_DEP_1)
	v_mov_b32_dpp v33, v32 row_shr:8 row_mask:0xf bank_mask:0xf
	v_cndmask_b32_e64 v33, 0, v33, s8
	s_delay_alu instid0(VALU_DEP_1) | instskip(SKIP_3) | instid1(VALU_DEP_1)
	v_add_nc_u32_e32 v32, v32, v33
	ds_swizzle_b32 v33, v32 offset:swizzle(BROADCAST,32,15)
	s_waitcnt lgkmcnt(0)
	v_cndmask_b32_e64 v33, v33, 0, s9
	v_add_nc_u32_e32 v32, v32, v33
	ds_store_b32 v11, v32
.LBB14_21:
	s_or_b32 exec_lo, exec_lo, s35
	v_mov_b32_e32 v11, 0
	s_waitcnt lgkmcnt(0)
	s_barrier
	buffer_gl0_inv
	s_and_saveexec_b32 s5, s10
	s_cbranch_execz .LBB14_23
; %bb.22:
	v_lshl_add_u32 v11, v31, 2, -4
	ds_load_b32 v11, v11
.LBB14_23:
	s_or_b32 exec_lo, exec_lo, s5
	v_add_nc_u32_e32 v31, -1, v12
	s_waitcnt lgkmcnt(0)
	v_add_nc_u32_e32 v30, v11, v30
	s_delay_alu instid0(VALU_DEP_2) | instskip(NEXT) | instid1(VALU_DEP_1)
	v_cmp_gt_i32_e64 s5, 0, v31
	v_cndmask_b32_e64 v31, v31, v12, s5
	v_cmp_eq_u32_e64 s5, 0, v12
	s_delay_alu instid0(VALU_DEP_2) | instskip(SKIP_4) | instid1(VALU_DEP_1)
	v_lshlrev_b32_e32 v31, 2, v31
	ds_bpermute_b32 v30, v31, v30
	s_waitcnt lgkmcnt(0)
	v_cndmask_b32_e64 v11, v30, v11, s5
	v_cmp_ne_u32_e64 s5, 0, v1
	v_cndmask_b32_e64 v11, 0, v11, s5
	v_cmp_gt_u32_e64 s5, 0x100, v1
	s_delay_alu instid0(VALU_DEP_2) | instskip(NEXT) | instid1(VALU_DEP_1)
	v_add_nc_u32_e32 v8, v11, v8
	v_add_nc_u32_e32 v9, v8, v9
	s_delay_alu instid0(VALU_DEP_1) | instskip(NEXT) | instid1(VALU_DEP_1)
	v_add_nc_u32_e32 v6, v9, v6
	v_add_nc_u32_e32 v7, v6, v7
	s_delay_alu instid0(VALU_DEP_1) | instskip(NEXT) | instid1(VALU_DEP_1)
	;; [unrolled: 3-line block ×3, first 2 shown]
	v_add_nc_u32_e32 v2, v5, v2
	v_add_nc_u32_e32 v3, v2, v3
	ds_store_2addr_b32 v16, v11, v8 offset0:32 offset1:33
	ds_store_2addr_b32 v29, v9, v6 offset0:2 offset1:3
	;; [unrolled: 1-line block ×4, first 2 shown]
	ds_store_b32 v29, v3 offset:32
	s_waitcnt lgkmcnt(0)
	s_barrier
	buffer_gl0_inv
	ds_load_b32 v2, v17 offset:128
	ds_load_b32 v3, v21 offset:128
	;; [unrolled: 1-line block ×4, first 2 shown]
                                        ; implicit-def: $vgpr16
                                        ; implicit-def: $vgpr17
	s_and_saveexec_b32 s7, s5
	s_cbranch_execz .LBB14_27
; %bb.24:
	v_mul_u32_u24_e32 v6, 33, v1
	s_mov_b32 s8, exec_lo
	s_delay_alu instid0(VALU_DEP_1)
	v_dual_mov_b32 v6, 0x1000 :: v_dual_lshlrev_b32 v7, 2, v6
	ds_load_b32 v16, v7 offset:128
	v_cmpx_ne_u32_e32 0xff, v1
	s_cbranch_execz .LBB14_26
; %bb.25:
	ds_load_b32 v6, v7 offset:260
.LBB14_26:
	s_or_b32 exec_lo, exec_lo, s8
	s_waitcnt lgkmcnt(0)
	v_sub_nc_u32_e32 v17, v6, v16
.LBB14_27:
	s_or_b32 exec_lo, exec_lo, s7
	s_waitcnt lgkmcnt(3)
	v_add_nc_u32_e32 v21, v2, v14
	s_waitcnt lgkmcnt(2)
	v_add3_u32 v19, v19, v18, v3
	s_waitcnt lgkmcnt(1)
	v_add3_u32 v18, v23, v22, v4
	;; [unrolled: 2-line block ×3, first 2 shown]
	v_lshlrev_b32_e32 v2, 1, v21
	v_lshlrev_b32_e32 v3, 1, v19
	;; [unrolled: 1-line block ×3, first 2 shown]
	s_delay_alu instid0(VALU_DEP_4)
	v_lshlrev_b32_e32 v5, 1, v14
	s_barrier
	buffer_gl0_inv
	ds_store_b16 v2, v13 offset:2048
	ds_store_b16 v3, v15 offset:2048
	;; [unrolled: 1-line block ×4, first 2 shown]
	s_waitcnt lgkmcnt(0)
	s_barrier
	buffer_gl0_inv
	s_and_saveexec_b32 s7, s5
	s_cbranch_execz .LBB14_37
; %bb.28:
	v_lshl_or_b32 v4, s15, 8, v1
	v_dual_mov_b32 v5, 0 :: v_dual_mov_b32 v8, 0
	s_mov_b32 s8, 0
	s_mov_b32 s9, s15
	s_delay_alu instid0(VALU_DEP_1) | instskip(SKIP_1) | instid1(VALU_DEP_2)
	v_lshlrev_b64 v[2:3], 2, v[4:5]
	v_or_b32_e32 v4, 2.0, v17
	v_add_co_u32 v2, s6, s12, v2
	s_delay_alu instid0(VALU_DEP_1)
	v_add_co_ci_u32_e64 v3, s6, s13, v3, s6
                                        ; implicit-def: $sgpr6
	global_store_b32 v[2:3], v4, off
	s_branch .LBB14_30
	.p2align	6
.LBB14_29:                              ;   in Loop: Header=BB14_30 Depth=1
	s_or_b32 exec_lo, exec_lo, s10
	v_and_b32_e32 v6, 0x3fffffff, v9
	v_cmp_eq_u32_e64 s6, 0x80000000, v4
	s_delay_alu instid0(VALU_DEP_2) | instskip(NEXT) | instid1(VALU_DEP_2)
	v_add_nc_u32_e32 v8, v6, v8
	s_and_b32 s10, exec_lo, s6
	s_delay_alu instid0(SALU_CYCLE_1) | instskip(NEXT) | instid1(SALU_CYCLE_1)
	s_or_b32 s8, s10, s8
	s_and_not1_b32 exec_lo, exec_lo, s8
	s_cbranch_execz .LBB14_36
.LBB14_30:                              ; =>This Loop Header: Depth=1
                                        ;     Child Loop BB14_33 Depth 2
	s_or_b32 s6, s6, exec_lo
	s_cmp_eq_u32 s9, 0
	s_cbranch_scc1 .LBB14_35
; %bb.31:                               ;   in Loop: Header=BB14_30 Depth=1
	s_add_i32 s9, s9, -1
	s_mov_b32 s10, exec_lo
	v_lshl_or_b32 v4, s9, 8, v1
	s_delay_alu instid0(VALU_DEP_1) | instskip(NEXT) | instid1(VALU_DEP_1)
	v_lshlrev_b64 v[6:7], 2, v[4:5]
	v_add_co_u32 v6, s6, s12, v6
	s_delay_alu instid0(VALU_DEP_1) | instskip(SKIP_3) | instid1(VALU_DEP_1)
	v_add_co_ci_u32_e64 v7, s6, s13, v7, s6
	global_load_b32 v9, v[6:7], off glc
	s_waitcnt vmcnt(0)
	v_and_b32_e32 v4, -2.0, v9
	v_cmpx_eq_u32_e32 0, v4
	s_cbranch_execz .LBB14_29
; %bb.32:                               ;   in Loop: Header=BB14_30 Depth=1
	s_mov_b32 s11, 0
.LBB14_33:                              ;   Parent Loop BB14_30 Depth=1
                                        ; =>  This Inner Loop Header: Depth=2
	global_load_b32 v9, v[6:7], off glc
	s_waitcnt vmcnt(0)
	v_and_b32_e32 v4, -2.0, v9
	s_delay_alu instid0(VALU_DEP_1) | instskip(NEXT) | instid1(VALU_DEP_1)
	v_cmp_ne_u32_e64 s6, 0, v4
	s_or_b32 s11, s6, s11
	s_delay_alu instid0(SALU_CYCLE_1)
	s_and_not1_b32 exec_lo, exec_lo, s11
	s_cbranch_execnz .LBB14_33
; %bb.34:                               ;   in Loop: Header=BB14_30 Depth=1
	s_or_b32 exec_lo, exec_lo, s11
	s_branch .LBB14_29
.LBB14_35:                              ;   in Loop: Header=BB14_30 Depth=1
                                        ; implicit-def: $sgpr9
	s_and_b32 s10, exec_lo, s6
	s_delay_alu instid0(SALU_CYCLE_1) | instskip(NEXT) | instid1(SALU_CYCLE_1)
	s_or_b32 s8, s10, s8
	s_and_not1_b32 exec_lo, exec_lo, s8
	s_cbranch_execnz .LBB14_30
.LBB14_36:
	s_or_b32 exec_lo, exec_lo, s8
	v_add_nc_u32_e32 v4, v8, v17
	v_lshlrev_b32_e32 v5, 3, v1
	s_delay_alu instid0(VALU_DEP_2) | instskip(SKIP_3) | instid1(VALU_DEP_1)
	v_or_b32_e32 v4, 0x80000000, v4
	global_store_b32 v[2:3], v4, off
	global_load_b64 v[2:3], v5, s[24:25]
	v_sub_co_u32 v4, s6, v8, v16
	v_sub_co_ci_u32_e64 v6, null, 0, 0, s6
	s_waitcnt vmcnt(0)
	s_delay_alu instid0(VALU_DEP_2) | instskip(NEXT) | instid1(VALU_DEP_1)
	v_add_co_u32 v2, s6, v4, v2
	v_add_co_ci_u32_e64 v3, s6, v6, v3, s6
	ds_store_b64 v5, v[2:3]
.LBB14_37:
	s_or_b32 exec_lo, exec_lo, s7
	v_cmp_gt_u32_e64 s6, s34, v1
	v_lshlrev_b32_e32 v22, 1, v1
	s_waitcnt lgkmcnt(0)
	s_waitcnt_vscnt null, 0x0
	s_barrier
	buffer_gl0_inv
	s_and_saveexec_b32 s8, s6
	s_cbranch_execz .LBB14_39
; %bb.38:
	ds_load_u16 v4, v22 offset:2048
	s_waitcnt lgkmcnt(0)
	v_and_b32_e32 v2, 0xffff, v4
	v_xor_b32_e32 v4, -1, v4
	s_delay_alu instid0(VALU_DEP_2) | instskip(NEXT) | instid1(VALU_DEP_1)
	v_lshrrev_b32_e32 v2, s28, v2
	v_and_b32_e32 v2, s33, v2
	s_delay_alu instid0(VALU_DEP_1) | instskip(SKIP_3) | instid1(VALU_DEP_1)
	v_lshlrev_b32_e32 v2, 3, v2
	ds_load_b64 v[2:3], v2
	s_waitcnt lgkmcnt(0)
	v_lshlrev_b64 v[2:3], 1, v[2:3]
	v_add_co_u32 v2, s7, s18, v2
	s_delay_alu instid0(VALU_DEP_1) | instskip(NEXT) | instid1(VALU_DEP_2)
	v_add_co_ci_u32_e64 v3, s7, s19, v3, s7
	v_add_co_u32 v2, s7, v2, v22
	s_delay_alu instid0(VALU_DEP_1)
	v_add_co_ci_u32_e64 v3, s7, 0, v3, s7
	global_store_b16 v[2:3], v4, off
.LBB14_39:
	s_or_b32 exec_lo, exec_lo, s8
	v_or_b32_e32 v13, 0x400, v1
	s_delay_alu instid0(VALU_DEP_1) | instskip(NEXT) | instid1(VALU_DEP_1)
	v_cmp_gt_u32_e64 s7, s34, v13
	s_and_saveexec_b32 s9, s7
	s_cbranch_execz .LBB14_41
; %bb.40:
	ds_load_u16 v4, v22 offset:4096
	s_waitcnt lgkmcnt(0)
	v_and_b32_e32 v2, 0xffff, v4
	v_xor_b32_e32 v4, -1, v4
	s_delay_alu instid0(VALU_DEP_2) | instskip(NEXT) | instid1(VALU_DEP_1)
	v_lshrrev_b32_e32 v2, s28, v2
	v_and_b32_e32 v2, s33, v2
	s_delay_alu instid0(VALU_DEP_1) | instskip(SKIP_3) | instid1(VALU_DEP_1)
	v_lshlrev_b32_e32 v2, 3, v2
	ds_load_b64 v[2:3], v2
	s_waitcnt lgkmcnt(0)
	v_lshlrev_b64 v[2:3], 1, v[2:3]
	v_add_co_u32 v2, s8, s18, v2
	s_delay_alu instid0(VALU_DEP_1) | instskip(NEXT) | instid1(VALU_DEP_2)
	v_add_co_ci_u32_e64 v3, s8, s19, v3, s8
	v_add_co_u32 v2, s8, v2, v22
	s_delay_alu instid0(VALU_DEP_1)
	v_add_co_ci_u32_e64 v3, s8, 0, v3, s8
	global_store_b16 v[2:3], v4, off offset:2048
.LBB14_41:
	s_or_b32 exec_lo, exec_lo, s9
	v_or_b32_e32 v15, 0x800, v1
	s_delay_alu instid0(VALU_DEP_1) | instskip(NEXT) | instid1(VALU_DEP_1)
	v_cmp_gt_u32_e64 s8, s34, v15
	s_and_saveexec_b32 s10, s8
	s_cbranch_execz .LBB14_43
; %bb.42:
	ds_load_u16 v4, v22 offset:6144
	v_lshlrev_b32_e32 v5, 1, v15
	s_waitcnt lgkmcnt(0)
	v_and_b32_e32 v2, 0xffff, v4
	v_xor_b32_e32 v4, -1, v4
	s_delay_alu instid0(VALU_DEP_2) | instskip(NEXT) | instid1(VALU_DEP_1)
	v_lshrrev_b32_e32 v2, s28, v2
	v_and_b32_e32 v2, s33, v2
	s_delay_alu instid0(VALU_DEP_1) | instskip(SKIP_3) | instid1(VALU_DEP_1)
	v_lshlrev_b32_e32 v2, 3, v2
	ds_load_b64 v[2:3], v2
	s_waitcnt lgkmcnt(0)
	v_lshlrev_b64 v[2:3], 1, v[2:3]
	v_add_co_u32 v2, s9, s18, v2
	s_delay_alu instid0(VALU_DEP_1) | instskip(NEXT) | instid1(VALU_DEP_2)
	v_add_co_ci_u32_e64 v3, s9, s19, v3, s9
	v_add_co_u32 v2, s9, v2, v5
	s_delay_alu instid0(VALU_DEP_1)
	v_add_co_ci_u32_e64 v3, s9, 0, v3, s9
	global_store_b16 v[2:3], v4, off
.LBB14_43:
	s_or_b32 exec_lo, exec_lo, s10
	v_or_b32_e32 v20, 0xc00, v1
	s_delay_alu instid0(VALU_DEP_1) | instskip(NEXT) | instid1(VALU_DEP_1)
	v_cmp_gt_u32_e64 s9, s34, v20
	s_and_saveexec_b32 s11, s9
	s_cbranch_execz .LBB14_45
; %bb.44:
	ds_load_u16 v4, v22 offset:8192
	v_lshlrev_b32_e32 v5, 1, v20
	s_waitcnt lgkmcnt(0)
	v_and_b32_e32 v2, 0xffff, v4
	v_xor_b32_e32 v4, -1, v4
	s_delay_alu instid0(VALU_DEP_2) | instskip(NEXT) | instid1(VALU_DEP_1)
	v_lshrrev_b32_e32 v2, s28, v2
	v_and_b32_e32 v2, s33, v2
	s_delay_alu instid0(VALU_DEP_1) | instskip(SKIP_3) | instid1(VALU_DEP_1)
	v_lshlrev_b32_e32 v2, 3, v2
	ds_load_b64 v[2:3], v2
	s_waitcnt lgkmcnt(0)
	v_lshlrev_b64 v[2:3], 1, v[2:3]
	v_add_co_u32 v2, s10, s18, v2
	s_delay_alu instid0(VALU_DEP_1) | instskip(NEXT) | instid1(VALU_DEP_2)
	v_add_co_ci_u32_e64 v3, s10, s19, v3, s10
	v_add_co_u32 v2, s10, v2, v5
	s_delay_alu instid0(VALU_DEP_1)
	v_add_co_ci_u32_e64 v3, s10, 0, v3, s10
	global_store_b16 v[2:3], v4, off
.LBB14_45:
	s_or_b32 exec_lo, exec_lo, s11
	v_lshlrev_b32_e32 v2, 3, v12
	s_lshl_b64 s[10:11], s[30:31], 3
	v_lshlrev_b32_e32 v3, 3, v10
	s_add_u32 s10, s20, s10
	s_addc_u32 s11, s21, s11
	v_add_co_u32 v2, s10, s10, v2
	s_delay_alu instid0(VALU_DEP_1) | instskip(NEXT) | instid1(VALU_DEP_2)
	v_add_co_ci_u32_e64 v4, null, s11, 0, s10
	v_add_co_u32 v10, s10, v2, v3
	s_delay_alu instid0(VALU_DEP_1) | instskip(SKIP_1) | instid1(SALU_CYCLE_1)
	v_add_co_ci_u32_e64 v11, s10, 0, v4, s10
                                        ; implicit-def: $vgpr2_vgpr3
	s_and_saveexec_b32 s10, vcc_lo
	s_xor_b32 s10, exec_lo, s10
	s_cbranch_execnz .LBB14_103
; %bb.46:
	s_or_b32 exec_lo, exec_lo, s10
                                        ; implicit-def: $vgpr4_vgpr5
	s_and_saveexec_b32 s10, s2
	s_cbranch_execnz .LBB14_104
.LBB14_47:
	s_or_b32 exec_lo, exec_lo, s10
                                        ; implicit-def: $vgpr6_vgpr7
	s_and_saveexec_b32 s2, s3
	s_cbranch_execnz .LBB14_105
.LBB14_48:
	s_or_b32 exec_lo, exec_lo, s2
                                        ; implicit-def: $vgpr8_vgpr9
	s_and_saveexec_b32 s2, s4
	s_cbranch_execz .LBB14_50
.LBB14_49:
	global_load_b64 v[8:9], v[10:11], off offset:768
.LBB14_50:
	s_or_b32 exec_lo, exec_lo, s2
	v_dual_mov_b32 v11, 0 :: v_dual_mov_b32 v24, 0
	s_and_saveexec_b32 s2, s6
	s_cbranch_execz .LBB14_52
; %bb.51:
	ds_load_u16 v10, v22 offset:2048
	s_waitcnt lgkmcnt(0)
	v_lshrrev_b32_e32 v10, s28, v10
	s_delay_alu instid0(VALU_DEP_1)
	v_and_b32_e32 v24, s33, v10
.LBB14_52:
	s_or_b32 exec_lo, exec_lo, s2
	s_and_saveexec_b32 s2, s7
	s_cbranch_execz .LBB14_54
; %bb.53:
	ds_load_u16 v10, v22 offset:4096
	s_waitcnt lgkmcnt(0)
	v_lshrrev_b32_e32 v10, s28, v10
	s_delay_alu instid0(VALU_DEP_1)
	v_and_b32_e32 v11, s33, v10
.LBB14_54:
	s_or_b32 exec_lo, exec_lo, s2
	v_dual_mov_b32 v10, 0 :: v_dual_mov_b32 v23, 0
	s_and_saveexec_b32 s2, s8
	s_cbranch_execz .LBB14_56
; %bb.55:
	ds_load_u16 v23, v22 offset:6144
	s_waitcnt lgkmcnt(0)
	v_lshrrev_b32_e32 v23, s28, v23
	s_delay_alu instid0(VALU_DEP_1)
	v_and_b32_e32 v23, s33, v23
.LBB14_56:
	s_or_b32 exec_lo, exec_lo, s2
	s_and_saveexec_b32 s2, s9
	s_cbranch_execz .LBB14_58
; %bb.57:
	ds_load_u16 v10, v22 offset:8192
	s_waitcnt lgkmcnt(0)
	v_lshrrev_b32_e32 v10, s28, v10
	s_delay_alu instid0(VALU_DEP_1)
	v_and_b32_e32 v10, s33, v10
.LBB14_58:
	s_or_b32 exec_lo, exec_lo, s2
	v_lshlrev_b32_e32 v21, 3, v21
	v_lshlrev_b32_e32 v19, 3, v19
	v_lshlrev_b32_e32 v18, 3, v18
	s_waitcnt vmcnt(0)
	s_waitcnt_vscnt null, 0x0
	s_barrier
	buffer_gl0_inv
	v_lshlrev_b32_e32 v14, 3, v14
	ds_store_b64 v21, v[2:3] offset:2048
	ds_store_b64 v19, v[4:5] offset:2048
	;; [unrolled: 1-line block ×3, first 2 shown]
	v_lshlrev_b32_e32 v2, 3, v1
	ds_store_b64 v14, v[8:9] offset:2048
	s_waitcnt lgkmcnt(0)
	s_barrier
	buffer_gl0_inv
	s_and_saveexec_b32 s2, s6
	s_cbranch_execnz .LBB14_106
; %bb.59:
	s_or_b32 exec_lo, exec_lo, s2
	s_and_saveexec_b32 s2, s7
	s_cbranch_execnz .LBB14_107
.LBB14_60:
	s_or_b32 exec_lo, exec_lo, s2
	s_and_saveexec_b32 s2, s8
	s_cbranch_execnz .LBB14_108
.LBB14_61:
	s_or_b32 exec_lo, exec_lo, s2
	s_and_saveexec_b32 s2, s9
	s_cbranch_execz .LBB14_63
.LBB14_62:
	v_lshlrev_b32_e32 v3, 3, v10
	ds_load_b64 v[3:4], v3
	ds_load_b64 v[5:6], v2 offset:26624
	s_waitcnt lgkmcnt(1)
	v_lshlrev_b64 v[2:3], 3, v[3:4]
	v_lshlrev_b32_e32 v4, 3, v20
	s_delay_alu instid0(VALU_DEP_2) | instskip(NEXT) | instid1(VALU_DEP_3)
	v_add_co_u32 v2, vcc_lo, s22, v2
	v_add_co_ci_u32_e32 v3, vcc_lo, s23, v3, vcc_lo
	s_delay_alu instid0(VALU_DEP_2) | instskip(NEXT) | instid1(VALU_DEP_2)
	v_add_co_u32 v2, vcc_lo, v2, v4
	v_add_co_ci_u32_e32 v3, vcc_lo, 0, v3, vcc_lo
	s_waitcnt lgkmcnt(0)
	global_store_b64 v[2:3], v[5:6], off
.LBB14_63:
	s_or_b32 exec_lo, exec_lo, s2
	s_add_i32 s14, s14, -1
	s_mov_b32 s2, 0
	s_cmp_eq_u32 s15, s14
	s_mov_b32 s8, 0
	s_cselect_b32 s3, -1, 0
                                        ; implicit-def: $vgpr5_vgpr6
	s_delay_alu instid0(SALU_CYCLE_1) | instskip(NEXT) | instid1(SALU_CYCLE_1)
	s_and_b32 s3, s5, s3
	s_and_saveexec_b32 s4, s3
	s_delay_alu instid0(SALU_CYCLE_1)
	s_xor_b32 s3, exec_lo, s4
; %bb.64:
	v_add_co_u32 v5, s4, v16, v17
	v_mov_b32_e32 v2, 0
	v_add_co_ci_u32_e64 v6, null, 0, 0, s4
	s_mov_b32 s8, exec_lo
; %bb.65:
	s_or_b32 exec_lo, exec_lo, s3
	s_delay_alu instid0(SALU_CYCLE_1)
	s_and_b32 vcc_lo, exec_lo, s2
	s_cbranch_vccnz .LBB14_67
	s_branch .LBB14_100
.LBB14_66:
	s_mov_b32 s8, 0
                                        ; implicit-def: $vgpr5_vgpr6
	s_cbranch_execz .LBB14_100
.LBB14_67:
	v_lshlrev_b32_e32 v13, 2, v1
	s_lshl_b32 s6, s15, 12
	s_mov_b32 s7, 0
	v_dual_mov_b32 v9, 0 :: v_dual_lshlrev_b32 v2, 1, v12
	s_delay_alu instid0(VALU_DEP_2) | instskip(SKIP_1) | instid1(SALU_CYCLE_1)
	v_and_b32_e32 v11, 0xf80, v13
	s_lshl_b64 s[2:3], s[6:7], 1
	s_add_u32 s2, s16, s2
	s_addc_u32 s3, s17, s3
	s_delay_alu instid0(VALU_DEP_1) | instskip(SKIP_1) | instid1(VALU_DEP_1)
	v_lshlrev_b32_e32 v3, 1, v11
	v_add_co_u32 v2, s2, s2, v2
	v_add_co_ci_u32_e64 v4, null, s3, 0, s2
	s_delay_alu instid0(VALU_DEP_2) | instskip(NEXT) | instid1(VALU_DEP_2)
	v_add_co_u32 v2, vcc_lo, v2, v3
	v_add_co_ci_u32_e32 v3, vcc_lo, 0, v4, vcc_lo
	global_load_u16 v6, v[2:3], off
	s_clause 0x1
	s_load_b32 s2, s[0:1], 0x5c
	s_load_b32 s9, s[0:1], 0x50
	s_add_u32 s0, s0, 0x50
	s_addc_u32 s1, s1, 0
	s_waitcnt lgkmcnt(0)
	s_lshr_b32 s2, s2, 16
	s_cmp_lt_u32 s15, s9
	s_cselect_b32 s3, 12, 18
	s_delay_alu instid0(SALU_CYCLE_1)
	s_add_u32 s0, s0, s3
	s_addc_u32 s1, s1, 0
	global_load_u16 v14, v9, s[0:1]
	s_clause 0x2
	global_load_u16 v5, v[2:3], off offset:64
	global_load_u16 v4, v[2:3], off offset:128
	global_load_u16 v2, v[2:3], off offset:192
	s_lshl_b32 s0, -1, s29
	s_delay_alu instid0(SALU_CYCLE_1) | instskip(SKIP_2) | instid1(VALU_DEP_1)
	s_not_b32 s10, s0
	s_waitcnt vmcnt(4)
	v_xor_b32_e32 v10, -1, v6
	v_and_b32_e32 v3, 0xffff, v10
	s_delay_alu instid0(VALU_DEP_1) | instskip(NEXT) | instid1(VALU_DEP_1)
	v_lshrrev_b32_e32 v3, s28, v3
	v_and_b32_e32 v16, s10, v3
	v_bfe_u32 v3, v0, 10, 10
	v_bfe_u32 v0, v0, 20, 10
	s_delay_alu instid0(VALU_DEP_3)
	v_and_b32_e32 v6, 1, v16
	v_lshlrev_b32_e32 v7, 30, v16
	v_lshlrev_b32_e32 v8, 29, v16
	;; [unrolled: 1-line block ×4, first 2 shown]
	v_add_co_u32 v6, s0, v6, -1
	s_delay_alu instid0(VALU_DEP_1)
	v_cndmask_b32_e64 v17, 0, 1, s0
	v_not_b32_e32 v21, v7
	v_cmp_gt_i32_e64 s0, 0, v7
	v_not_b32_e32 v7, v8
	v_lshlrev_b32_e32 v19, 26, v16
	v_cmp_ne_u32_e32 vcc_lo, 0, v17
	v_ashrrev_i32_e32 v21, 31, v21
	v_lshlrev_b32_e32 v20, 25, v16
	v_ashrrev_i32_e32 v7, 31, v7
	v_lshlrev_b32_e32 v17, 24, v16
	v_xor_b32_e32 v6, vcc_lo, v6
	v_cmp_gt_i32_e32 vcc_lo, 0, v8
	v_not_b32_e32 v8, v15
	v_xor_b32_e32 v21, s0, v21
	v_cmp_gt_i32_e64 s0, 0, v15
	v_and_b32_e32 v6, exec_lo, v6
	v_not_b32_e32 v15, v18
	v_ashrrev_i32_e32 v8, 31, v8
	v_xor_b32_e32 v7, vcc_lo, v7
	v_cmp_gt_i32_e32 vcc_lo, 0, v18
	v_and_b32_e32 v6, v6, v21
	v_not_b32_e32 v18, v19
	v_ashrrev_i32_e32 v15, 31, v15
	v_xor_b32_e32 v8, s0, v8
	v_cmp_gt_i32_e64 s0, 0, v19
	v_and_b32_e32 v6, v6, v7
	v_not_b32_e32 v7, v20
	v_ashrrev_i32_e32 v18, 31, v18
	v_xor_b32_e32 v15, vcc_lo, v15
	v_cmp_gt_i32_e32 vcc_lo, 0, v20
	v_and_b32_e32 v6, v6, v8
	v_not_b32_e32 v8, v17
	v_ashrrev_i32_e32 v7, 31, v7
	v_xor_b32_e32 v18, s0, v18
	v_cmp_gt_i32_e64 s0, 0, v17
	v_and_b32_e32 v6, v6, v15
	v_ashrrev_i32_e32 v8, 31, v8
	v_xor_b32_e32 v7, vcc_lo, v7
	v_mad_u32_u24 v0, v0, s2, v3
	v_mul_u32_u24_e32 v15, 9, v1
	v_and_b32_e32 v6, v6, v18
	v_xor_b32_e32 v3, s0, v8
	s_delay_alu instid0(VALU_DEP_3) | instskip(NEXT) | instid1(VALU_DEP_3)
	v_lshlrev_b32_e32 v15, 2, v15
	v_and_b32_e32 v6, v6, v7
	s_waitcnt vmcnt(0)
	v_mad_u64_u32 v[7:8], null, v0, v14, v[1:2]
	ds_store_2addr_b32 v15, v9, v9 offset0:32 offset1:33
	ds_store_2addr_b32 v15, v9, v9 offset0:34 offset1:35
	;; [unrolled: 1-line block ×4, first 2 shown]
	v_and_b32_e32 v6, v6, v3
	ds_store_b32 v15, v9 offset:160
	s_waitcnt lgkmcnt(0)
	s_waitcnt_vscnt null, 0x0
	s_barrier
	v_lshrrev_b32_e32 v3, 5, v7
	v_mbcnt_lo_u32_b32 v0, v6, 0
	v_mul_u32_u24_e32 v7, 33, v16
	v_cmp_ne_u32_e64 s0, 0, v6
	buffer_gl0_inv
	v_cmp_eq_u32_e32 vcc_lo, 0, v0
	v_add_lshl_u32 v16, v3, v7, 2
	; wave barrier
	s_and_b32 s1, s0, vcc_lo
	s_delay_alu instid0(SALU_CYCLE_1)
	s_and_saveexec_b32 s0, s1
	s_cbranch_execz .LBB14_69
; %bb.68:
	v_bcnt_u32_b32 v6, v6, 0
	ds_store_b32 v16, v6 offset:128
.LBB14_69:
	s_or_b32 exec_lo, exec_lo, s0
	v_xor_b32_e32 v14, -1, v5
	; wave barrier
	s_delay_alu instid0(VALU_DEP_1) | instskip(NEXT) | instid1(VALU_DEP_1)
	v_and_b32_e32 v5, 0xffff, v14
	v_lshrrev_b32_e32 v5, s28, v5
	s_delay_alu instid0(VALU_DEP_1) | instskip(NEXT) | instid1(VALU_DEP_1)
	v_and_b32_e32 v5, s10, v5
	v_and_b32_e32 v6, 1, v5
	v_lshlrev_b32_e32 v7, 30, v5
	v_lshlrev_b32_e32 v8, 29, v5
	;; [unrolled: 1-line block ×4, first 2 shown]
	v_add_co_u32 v6, s0, v6, -1
	s_delay_alu instid0(VALU_DEP_1)
	v_cndmask_b32_e64 v17, 0, 1, s0
	v_not_b32_e32 v21, v7
	v_cmp_gt_i32_e64 s0, 0, v7
	v_not_b32_e32 v7, v8
	v_lshlrev_b32_e32 v19, 26, v5
	v_cmp_ne_u32_e32 vcc_lo, 0, v17
	v_ashrrev_i32_e32 v21, 31, v21
	v_lshlrev_b32_e32 v20, 25, v5
	v_ashrrev_i32_e32 v7, 31, v7
	v_lshlrev_b32_e32 v17, 24, v5
	v_xor_b32_e32 v6, vcc_lo, v6
	v_cmp_gt_i32_e32 vcc_lo, 0, v8
	v_not_b32_e32 v8, v9
	v_xor_b32_e32 v21, s0, v21
	v_cmp_gt_i32_e64 s0, 0, v9
	v_and_b32_e32 v6, exec_lo, v6
	v_not_b32_e32 v9, v18
	v_ashrrev_i32_e32 v8, 31, v8
	v_xor_b32_e32 v7, vcc_lo, v7
	v_cmp_gt_i32_e32 vcc_lo, 0, v18
	v_and_b32_e32 v6, v6, v21
	v_not_b32_e32 v18, v19
	v_ashrrev_i32_e32 v9, 31, v9
	v_xor_b32_e32 v8, s0, v8
	v_cmp_gt_i32_e64 s0, 0, v19
	v_and_b32_e32 v6, v6, v7
	v_not_b32_e32 v7, v20
	v_ashrrev_i32_e32 v18, 31, v18
	v_xor_b32_e32 v9, vcc_lo, v9
	v_cmp_gt_i32_e32 vcc_lo, 0, v20
	v_and_b32_e32 v6, v6, v8
	v_not_b32_e32 v8, v17
	v_ashrrev_i32_e32 v7, 31, v7
	v_xor_b32_e32 v18, s0, v18
	v_mul_u32_u24_e32 v5, 33, v5
	v_and_b32_e32 v6, v6, v9
	v_cmp_gt_i32_e64 s0, 0, v17
	v_ashrrev_i32_e32 v8, 31, v8
	v_xor_b32_e32 v7, vcc_lo, v7
	v_add_lshl_u32 v20, v3, v5, 2
	v_and_b32_e32 v6, v6, v18
	s_delay_alu instid0(VALU_DEP_4) | instskip(SKIP_2) | instid1(VALU_DEP_1)
	v_xor_b32_e32 v5, s0, v8
	ds_load_b32 v17, v20 offset:128
	v_and_b32_e32 v6, v6, v7
	; wave barrier
	v_and_b32_e32 v5, v6, v5
	s_delay_alu instid0(VALU_DEP_1) | instskip(SKIP_1) | instid1(VALU_DEP_2)
	v_mbcnt_lo_u32_b32 v18, v5, 0
	v_cmp_ne_u32_e64 s0, 0, v5
	v_cmp_eq_u32_e32 vcc_lo, 0, v18
	s_delay_alu instid0(VALU_DEP_2) | instskip(NEXT) | instid1(SALU_CYCLE_1)
	s_and_b32 s1, s0, vcc_lo
	s_and_saveexec_b32 s0, s1
	s_cbranch_execz .LBB14_71
; %bb.70:
	s_waitcnt lgkmcnt(0)
	v_bcnt_u32_b32 v5, v5, v17
	ds_store_b32 v20, v5 offset:128
.LBB14_71:
	s_or_b32 exec_lo, exec_lo, s0
	v_xor_b32_e32 v19, -1, v4
	; wave barrier
	s_delay_alu instid0(VALU_DEP_1) | instskip(NEXT) | instid1(VALU_DEP_1)
	v_and_b32_e32 v4, 0xffff, v19
	v_lshrrev_b32_e32 v4, s28, v4
	s_delay_alu instid0(VALU_DEP_1) | instskip(NEXT) | instid1(VALU_DEP_1)
	v_and_b32_e32 v4, s10, v4
	v_and_b32_e32 v5, 1, v4
	v_lshlrev_b32_e32 v6, 30, v4
	v_lshlrev_b32_e32 v7, 29, v4
	;; [unrolled: 1-line block ×4, first 2 shown]
	v_add_co_u32 v5, s0, v5, -1
	s_delay_alu instid0(VALU_DEP_1)
	v_cndmask_b32_e64 v9, 0, 1, s0
	v_not_b32_e32 v24, v6
	v_cmp_gt_i32_e64 s0, 0, v6
	v_not_b32_e32 v6, v7
	v_lshlrev_b32_e32 v22, 26, v4
	v_cmp_ne_u32_e32 vcc_lo, 0, v9
	v_ashrrev_i32_e32 v24, 31, v24
	v_lshlrev_b32_e32 v23, 25, v4
	v_ashrrev_i32_e32 v6, 31, v6
	v_lshlrev_b32_e32 v9, 24, v4
	v_xor_b32_e32 v5, vcc_lo, v5
	v_cmp_gt_i32_e32 vcc_lo, 0, v7
	v_not_b32_e32 v7, v8
	v_xor_b32_e32 v24, s0, v24
	v_cmp_gt_i32_e64 s0, 0, v8
	v_and_b32_e32 v5, exec_lo, v5
	v_not_b32_e32 v8, v21
	v_ashrrev_i32_e32 v7, 31, v7
	v_xor_b32_e32 v6, vcc_lo, v6
	v_cmp_gt_i32_e32 vcc_lo, 0, v21
	v_and_b32_e32 v5, v5, v24
	v_not_b32_e32 v21, v22
	v_ashrrev_i32_e32 v8, 31, v8
	v_xor_b32_e32 v7, s0, v7
	v_cmp_gt_i32_e64 s0, 0, v22
	v_and_b32_e32 v5, v5, v6
	v_not_b32_e32 v6, v23
	v_ashrrev_i32_e32 v21, 31, v21
	v_xor_b32_e32 v8, vcc_lo, v8
	v_cmp_gt_i32_e32 vcc_lo, 0, v23
	v_and_b32_e32 v5, v5, v7
	v_not_b32_e32 v7, v9
	v_ashrrev_i32_e32 v6, 31, v6
	v_xor_b32_e32 v21, s0, v21
	v_mul_u32_u24_e32 v4, 33, v4
	v_and_b32_e32 v5, v5, v8
	v_cmp_gt_i32_e64 s0, 0, v9
	v_ashrrev_i32_e32 v7, 31, v7
	v_xor_b32_e32 v6, vcc_lo, v6
	v_add_lshl_u32 v24, v3, v4, 2
	v_and_b32_e32 v5, v5, v21
	s_delay_alu instid0(VALU_DEP_4) | instskip(SKIP_2) | instid1(VALU_DEP_1)
	v_xor_b32_e32 v4, s0, v7
	ds_load_b32 v21, v24 offset:128
	v_and_b32_e32 v5, v5, v6
	; wave barrier
	v_and_b32_e32 v4, v5, v4
	s_delay_alu instid0(VALU_DEP_1) | instskip(SKIP_1) | instid1(VALU_DEP_2)
	v_mbcnt_lo_u32_b32 v22, v4, 0
	v_cmp_ne_u32_e64 s0, 0, v4
	v_cmp_eq_u32_e32 vcc_lo, 0, v22
	s_delay_alu instid0(VALU_DEP_2) | instskip(NEXT) | instid1(SALU_CYCLE_1)
	s_and_b32 s1, s0, vcc_lo
	s_and_saveexec_b32 s0, s1
	s_cbranch_execz .LBB14_73
; %bb.72:
	s_waitcnt lgkmcnt(0)
	v_bcnt_u32_b32 v4, v4, v21
	ds_store_b32 v24, v4 offset:128
.LBB14_73:
	s_or_b32 exec_lo, exec_lo, s0
	v_xor_b32_e32 v23, -1, v2
	; wave barrier
	v_add_nc_u32_e32 v28, 0x80, v15
	s_delay_alu instid0(VALU_DEP_2) | instskip(NEXT) | instid1(VALU_DEP_1)
	v_and_b32_e32 v2, 0xffff, v23
	v_lshrrev_b32_e32 v2, s28, v2
	s_delay_alu instid0(VALU_DEP_1) | instskip(NEXT) | instid1(VALU_DEP_1)
	v_and_b32_e32 v2, s10, v2
	v_and_b32_e32 v4, 1, v2
	v_lshlrev_b32_e32 v5, 30, v2
	v_lshlrev_b32_e32 v6, 29, v2
	;; [unrolled: 1-line block ×4, first 2 shown]
	v_add_co_u32 v4, s0, v4, -1
	s_delay_alu instid0(VALU_DEP_1)
	v_cndmask_b32_e64 v8, 0, 1, s0
	v_not_b32_e32 v27, v5
	v_cmp_gt_i32_e64 s0, 0, v5
	v_not_b32_e32 v5, v6
	v_lshlrev_b32_e32 v25, 26, v2
	v_cmp_ne_u32_e32 vcc_lo, 0, v8
	v_ashrrev_i32_e32 v27, 31, v27
	v_lshlrev_b32_e32 v26, 25, v2
	v_ashrrev_i32_e32 v5, 31, v5
	v_lshlrev_b32_e32 v8, 24, v2
	v_xor_b32_e32 v4, vcc_lo, v4
	v_cmp_gt_i32_e32 vcc_lo, 0, v6
	v_not_b32_e32 v6, v7
	v_xor_b32_e32 v27, s0, v27
	v_cmp_gt_i32_e64 s0, 0, v7
	v_and_b32_e32 v4, exec_lo, v4
	v_not_b32_e32 v7, v9
	v_ashrrev_i32_e32 v6, 31, v6
	v_xor_b32_e32 v5, vcc_lo, v5
	v_cmp_gt_i32_e32 vcc_lo, 0, v9
	v_and_b32_e32 v4, v4, v27
	v_not_b32_e32 v9, v25
	v_ashrrev_i32_e32 v7, 31, v7
	v_xor_b32_e32 v6, s0, v6
	v_cmp_gt_i32_e64 s0, 0, v25
	v_and_b32_e32 v4, v4, v5
	v_not_b32_e32 v5, v26
	v_ashrrev_i32_e32 v9, 31, v9
	v_xor_b32_e32 v7, vcc_lo, v7
	v_cmp_gt_i32_e32 vcc_lo, 0, v26
	v_and_b32_e32 v4, v4, v6
	v_not_b32_e32 v6, v8
	v_ashrrev_i32_e32 v5, 31, v5
	v_xor_b32_e32 v9, s0, v9
	v_mul_u32_u24_e32 v2, 33, v2
	v_and_b32_e32 v4, v4, v7
	v_cmp_gt_i32_e64 s0, 0, v8
	v_ashrrev_i32_e32 v6, 31, v6
	v_xor_b32_e32 v5, vcc_lo, v5
	v_add_lshl_u32 v27, v3, v2, 2
	v_and_b32_e32 v4, v4, v9
	s_delay_alu instid0(VALU_DEP_4) | instskip(SKIP_2) | instid1(VALU_DEP_1)
	v_xor_b32_e32 v2, s0, v6
	ds_load_b32 v25, v27 offset:128
	v_and_b32_e32 v3, v4, v5
	; wave barrier
	v_and_b32_e32 v2, v3, v2
	s_delay_alu instid0(VALU_DEP_1) | instskip(SKIP_1) | instid1(VALU_DEP_2)
	v_mbcnt_lo_u32_b32 v26, v2, 0
	v_cmp_ne_u32_e64 s0, 0, v2
	v_cmp_eq_u32_e32 vcc_lo, 0, v26
	s_delay_alu instid0(VALU_DEP_2) | instskip(NEXT) | instid1(SALU_CYCLE_1)
	s_and_b32 s1, s0, vcc_lo
	s_and_saveexec_b32 s0, s1
	s_cbranch_execz .LBB14_75
; %bb.74:
	s_waitcnt lgkmcnt(0)
	v_bcnt_u32_b32 v2, v2, v25
	ds_store_b32 v27, v2 offset:128
.LBB14_75:
	s_or_b32 exec_lo, exec_lo, s0
	; wave barrier
	s_waitcnt lgkmcnt(0)
	s_barrier
	buffer_gl0_inv
	ds_load_2addr_b32 v[8:9], v15 offset0:32 offset1:33
	ds_load_2addr_b32 v[6:7], v28 offset0:2 offset1:3
	;; [unrolled: 1-line block ×4, first 2 shown]
	ds_load_b32 v29, v28 offset:32
	v_and_b32_e32 v32, 16, v12
	v_and_b32_e32 v33, 31, v1
	s_mov_b32 s5, exec_lo
	s_delay_alu instid0(VALU_DEP_2) | instskip(SKIP_3) | instid1(VALU_DEP_1)
	v_cmp_eq_u32_e64 s3, 0, v32
	s_waitcnt lgkmcnt(3)
	v_add3_u32 v30, v9, v8, v6
	s_waitcnt lgkmcnt(2)
	v_add3_u32 v30, v30, v7, v4
	s_waitcnt lgkmcnt(1)
	s_delay_alu instid0(VALU_DEP_1) | instskip(SKIP_1) | instid1(VALU_DEP_1)
	v_add3_u32 v30, v30, v5, v2
	s_waitcnt lgkmcnt(0)
	v_add3_u32 v29, v30, v3, v29
	v_and_b32_e32 v30, 15, v12
	s_delay_alu instid0(VALU_DEP_2) | instskip(NEXT) | instid1(VALU_DEP_2)
	v_mov_b32_dpp v31, v29 row_shr:1 row_mask:0xf bank_mask:0xf
	v_cmp_eq_u32_e32 vcc_lo, 0, v30
	v_cmp_lt_u32_e64 s0, 1, v30
	v_cmp_lt_u32_e64 s1, 3, v30
	;; [unrolled: 1-line block ×3, first 2 shown]
	v_cndmask_b32_e64 v31, v31, 0, vcc_lo
	s_delay_alu instid0(VALU_DEP_1) | instskip(NEXT) | instid1(VALU_DEP_1)
	v_add_nc_u32_e32 v29, v31, v29
	v_mov_b32_dpp v31, v29 row_shr:2 row_mask:0xf bank_mask:0xf
	s_delay_alu instid0(VALU_DEP_1) | instskip(NEXT) | instid1(VALU_DEP_1)
	v_cndmask_b32_e64 v31, 0, v31, s0
	v_add_nc_u32_e32 v29, v29, v31
	s_delay_alu instid0(VALU_DEP_1) | instskip(NEXT) | instid1(VALU_DEP_1)
	v_mov_b32_dpp v31, v29 row_shr:4 row_mask:0xf bank_mask:0xf
	v_cndmask_b32_e64 v31, 0, v31, s1
	s_delay_alu instid0(VALU_DEP_1) | instskip(NEXT) | instid1(VALU_DEP_1)
	v_add_nc_u32_e32 v29, v29, v31
	v_mov_b32_dpp v31, v29 row_shr:8 row_mask:0xf bank_mask:0xf
	s_delay_alu instid0(VALU_DEP_1) | instskip(SKIP_1) | instid1(VALU_DEP_2)
	v_cndmask_b32_e64 v30, 0, v31, s2
	v_bfe_i32 v31, v12, 4, 1
	v_add_nc_u32_e32 v29, v29, v30
	ds_swizzle_b32 v30, v29 offset:swizzle(BROADCAST,32,15)
	s_waitcnt lgkmcnt(0)
	v_and_b32_e32 v31, v31, v30
	v_lshrrev_b32_e32 v30, 5, v1
	s_delay_alu instid0(VALU_DEP_2)
	v_add_nc_u32_e32 v29, v29, v31
	v_cmpx_eq_u32_e32 31, v33
	s_cbranch_execz .LBB14_77
; %bb.76:
	s_delay_alu instid0(VALU_DEP_3)
	v_lshlrev_b32_e32 v31, 2, v30
	ds_store_b32 v31, v29
.LBB14_77:
	s_or_b32 exec_lo, exec_lo, s5
	v_cmp_lt_u32_e64 s4, 31, v1
	s_mov_b32 s11, exec_lo
	s_waitcnt lgkmcnt(0)
	s_barrier
	buffer_gl0_inv
	v_cmpx_gt_u32_e32 32, v1
	s_cbranch_execz .LBB14_79
; %bb.78:
	ds_load_b32 v31, v13
	s_waitcnt lgkmcnt(0)
	v_mov_b32_dpp v32, v31 row_shr:1 row_mask:0xf bank_mask:0xf
	s_delay_alu instid0(VALU_DEP_1) | instskip(NEXT) | instid1(VALU_DEP_1)
	v_cndmask_b32_e64 v32, v32, 0, vcc_lo
	v_add_nc_u32_e32 v31, v32, v31
	s_delay_alu instid0(VALU_DEP_1) | instskip(NEXT) | instid1(VALU_DEP_1)
	v_mov_b32_dpp v32, v31 row_shr:2 row_mask:0xf bank_mask:0xf
	v_cndmask_b32_e64 v32, 0, v32, s0
	s_delay_alu instid0(VALU_DEP_1) | instskip(NEXT) | instid1(VALU_DEP_1)
	v_add_nc_u32_e32 v31, v31, v32
	v_mov_b32_dpp v32, v31 row_shr:4 row_mask:0xf bank_mask:0xf
	s_delay_alu instid0(VALU_DEP_1) | instskip(NEXT) | instid1(VALU_DEP_1)
	v_cndmask_b32_e64 v32, 0, v32, s1
	v_add_nc_u32_e32 v31, v31, v32
	s_delay_alu instid0(VALU_DEP_1) | instskip(NEXT) | instid1(VALU_DEP_1)
	v_mov_b32_dpp v32, v31 row_shr:8 row_mask:0xf bank_mask:0xf
	v_cndmask_b32_e64 v32, 0, v32, s2
	s_delay_alu instid0(VALU_DEP_1) | instskip(SKIP_3) | instid1(VALU_DEP_1)
	v_add_nc_u32_e32 v31, v31, v32
	ds_swizzle_b32 v32, v31 offset:swizzle(BROADCAST,32,15)
	s_waitcnt lgkmcnt(0)
	v_cndmask_b32_e64 v32, v32, 0, s3
	v_add_nc_u32_e32 v31, v31, v32
	ds_store_b32 v13, v31
.LBB14_79:
	s_or_b32 exec_lo, exec_lo, s11
	v_mov_b32_e32 v13, 0
	s_waitcnt lgkmcnt(0)
	s_barrier
	buffer_gl0_inv
	s_and_saveexec_b32 s0, s4
	s_cbranch_execz .LBB14_81
; %bb.80:
	v_lshl_add_u32 v13, v30, 2, -4
	ds_load_b32 v13, v13
.LBB14_81:
	s_or_b32 exec_lo, exec_lo, s0
	v_add_nc_u32_e32 v30, -1, v12
	v_cmp_lt_u32_e64 s0, 0xff, v1
	s_waitcnt lgkmcnt(0)
	v_add_nc_u32_e32 v29, v13, v29
	s_delay_alu instid0(VALU_DEP_3) | instskip(SKIP_2) | instid1(VALU_DEP_2)
	v_cmp_gt_i32_e32 vcc_lo, 0, v30
	v_cndmask_b32_e32 v30, v30, v12, vcc_lo
	v_cmp_eq_u32_e32 vcc_lo, 0, v12
	v_lshlrev_b32_e32 v30, 2, v30
	ds_bpermute_b32 v29, v30, v29
	s_waitcnt lgkmcnt(0)
	v_cndmask_b32_e32 v13, v29, v13, vcc_lo
	v_cmp_ne_u32_e32 vcc_lo, 0, v1
	s_delay_alu instid0(VALU_DEP_2) | instskip(SKIP_1) | instid1(VALU_DEP_2)
	v_cndmask_b32_e32 v13, 0, v13, vcc_lo
	v_cmp_gt_u32_e32 vcc_lo, 0x100, v1
	v_add_nc_u32_e32 v8, v13, v8
	s_delay_alu instid0(VALU_DEP_1) | instskip(NEXT) | instid1(VALU_DEP_1)
	v_add_nc_u32_e32 v9, v8, v9
	v_add_nc_u32_e32 v6, v9, v6
	s_delay_alu instid0(VALU_DEP_1) | instskip(NEXT) | instid1(VALU_DEP_1)
	v_add_nc_u32_e32 v7, v6, v7
	;; [unrolled: 3-line block ×3, first 2 shown]
	v_add_nc_u32_e32 v2, v5, v2
	s_delay_alu instid0(VALU_DEP_1)
	v_add_nc_u32_e32 v3, v2, v3
	ds_store_2addr_b32 v15, v13, v8 offset0:32 offset1:33
	ds_store_2addr_b32 v28, v9, v6 offset0:2 offset1:3
	;; [unrolled: 1-line block ×4, first 2 shown]
	ds_store_b32 v28, v3 offset:32
	s_waitcnt lgkmcnt(0)
	s_barrier
	buffer_gl0_inv
	ds_load_b32 v2, v16 offset:128
	ds_load_b32 v5, v20 offset:128
	;; [unrolled: 1-line block ×4, first 2 shown]
	v_mov_b32_e32 v3, 0
	v_mov_b32_e32 v4, 0
                                        ; implicit-def: $vgpr13
	s_and_saveexec_b32 s2, vcc_lo
	s_cbranch_execz .LBB14_85
; %bb.82:
	v_mul_u32_u24_e32 v3, 33, v1
	v_mov_b32_e32 v4, 0x1000
	s_mov_b32 s3, exec_lo
	s_delay_alu instid0(VALU_DEP_2)
	v_lshlrev_b32_e32 v8, 2, v3
	ds_load_b32 v3, v8 offset:128
	v_cmpx_ne_u32_e32 0xff, v1
	s_cbranch_execz .LBB14_84
; %bb.83:
	ds_load_b32 v4, v8 offset:260
.LBB14_84:
	s_or_b32 exec_lo, exec_lo, s3
	s_waitcnt lgkmcnt(0)
	v_sub_nc_u32_e32 v13, v4, v3
	v_mov_b32_e32 v4, 0
.LBB14_85:
	s_or_b32 exec_lo, exec_lo, s2
	s_waitcnt lgkmcnt(3)
	v_add_nc_u32_e32 v20, v2, v0
	s_waitcnt lgkmcnt(2)
	v_add3_u32 v16, v18, v17, v5
	s_waitcnt lgkmcnt(1)
	v_add3_u32 v15, v22, v21, v6
	;; [unrolled: 2-line block ×3, first 2 shown]
	v_lshlrev_b32_e32 v2, 1, v20
	v_lshlrev_b32_e32 v5, 1, v16
	;; [unrolled: 1-line block ×3, first 2 shown]
	s_delay_alu instid0(VALU_DEP_4)
	v_lshlrev_b32_e32 v7, 1, v0
	s_barrier
	buffer_gl0_inv
	ds_store_b16 v2, v10 offset:2048
	ds_store_b16 v5, v14 offset:2048
	;; [unrolled: 1-line block ×4, first 2 shown]
	s_waitcnt lgkmcnt(0)
	s_barrier
	buffer_gl0_inv
	s_and_saveexec_b32 s1, s0
	s_delay_alu instid0(SALU_CYCLE_1)
	s_xor_b32 s0, exec_lo, s1
; %bb.86:
	v_mov_b32_e32 v2, 0
; %bb.87:
	s_and_not1_saveexec_b32 s1, s0
	s_cbranch_execz .LBB14_97
; %bb.88:
	v_lshl_or_b32 v7, s15, 8, v1
	v_mov_b32_e32 v8, 0
	v_mov_b32_e32 v2, 0
	s_mov_b32 s2, 0
	s_mov_b32 s3, s15
	s_delay_alu instid0(VALU_DEP_2) | instskip(SKIP_1) | instid1(VALU_DEP_2)
	v_lshlrev_b64 v[5:6], 2, v[7:8]
	v_or_b32_e32 v7, 2.0, v13
	v_add_co_u32 v5, s0, s12, v5
	s_delay_alu instid0(VALU_DEP_1)
	v_add_co_ci_u32_e64 v6, s0, s13, v6, s0
                                        ; implicit-def: $sgpr0
	global_store_b32 v[5:6], v7, off
	s_branch .LBB14_91
	.p2align	6
.LBB14_89:                              ;   in Loop: Header=BB14_91 Depth=1
	s_or_b32 exec_lo, exec_lo, s5
.LBB14_90:                              ;   in Loop: Header=BB14_91 Depth=1
	s_delay_alu instid0(SALU_CYCLE_1) | instskip(SKIP_2) | instid1(VALU_DEP_2)
	s_or_b32 exec_lo, exec_lo, s4
	v_and_b32_e32 v9, 0x3fffffff, v14
	v_cmp_eq_u32_e64 s0, 0x80000000, v7
	v_add_nc_u32_e32 v2, v9, v2
	s_delay_alu instid0(VALU_DEP_2) | instskip(NEXT) | instid1(SALU_CYCLE_1)
	s_and_b32 s4, exec_lo, s0
	s_or_b32 s2, s4, s2
	s_delay_alu instid0(SALU_CYCLE_1)
	s_and_not1_b32 exec_lo, exec_lo, s2
	s_cbranch_execz .LBB14_96
.LBB14_91:                              ; =>This Loop Header: Depth=1
                                        ;     Child Loop BB14_94 Depth 2
	s_or_b32 s0, s0, exec_lo
	s_cmp_eq_u32 s3, 0
	s_cbranch_scc1 .LBB14_95
; %bb.92:                               ;   in Loop: Header=BB14_91 Depth=1
	s_add_i32 s3, s3, -1
	s_mov_b32 s4, exec_lo
	v_lshl_or_b32 v7, s3, 8, v1
	s_delay_alu instid0(VALU_DEP_1) | instskip(NEXT) | instid1(VALU_DEP_1)
	v_lshlrev_b64 v[9:10], 2, v[7:8]
	v_add_co_u32 v9, s0, s12, v9
	s_delay_alu instid0(VALU_DEP_1) | instskip(SKIP_3) | instid1(VALU_DEP_1)
	v_add_co_ci_u32_e64 v10, s0, s13, v10, s0
	global_load_b32 v14, v[9:10], off glc
	s_waitcnt vmcnt(0)
	v_and_b32_e32 v7, -2.0, v14
	v_cmpx_eq_u32_e32 0, v7
	s_cbranch_execz .LBB14_90
; %bb.93:                               ;   in Loop: Header=BB14_91 Depth=1
	s_mov_b32 s5, 0
.LBB14_94:                              ;   Parent Loop BB14_91 Depth=1
                                        ; =>  This Inner Loop Header: Depth=2
	global_load_b32 v14, v[9:10], off glc
	s_waitcnt vmcnt(0)
	v_and_b32_e32 v7, -2.0, v14
	s_delay_alu instid0(VALU_DEP_1) | instskip(NEXT) | instid1(VALU_DEP_1)
	v_cmp_ne_u32_e64 s0, 0, v7
	s_or_b32 s5, s0, s5
	s_delay_alu instid0(SALU_CYCLE_1)
	s_and_not1_b32 exec_lo, exec_lo, s5
	s_cbranch_execnz .LBB14_94
	s_branch .LBB14_89
.LBB14_95:                              ;   in Loop: Header=BB14_91 Depth=1
                                        ; implicit-def: $sgpr3
	s_and_b32 s4, exec_lo, s0
	s_delay_alu instid0(SALU_CYCLE_1) | instskip(NEXT) | instid1(SALU_CYCLE_1)
	s_or_b32 s2, s4, s2
	s_and_not1_b32 exec_lo, exec_lo, s2
	s_cbranch_execnz .LBB14_91
.LBB14_96:
	s_or_b32 exec_lo, exec_lo, s2
	v_add_nc_u32_e32 v7, v2, v13
	v_lshlrev_b32_e32 v8, 3, v1
	v_sub_co_u32 v2, s0, v2, v3
	s_delay_alu instid0(VALU_DEP_3)
	v_or_b32_e32 v7, 0x80000000, v7
	global_store_b32 v[5:6], v7, off
	global_load_b64 v[5:6], v8, s[24:25]
	v_sub_co_ci_u32_e64 v7, s0, 0, v4, s0
	s_waitcnt vmcnt(0)
	v_add_co_u32 v5, s0, v2, v5
	v_mov_b32_e32 v2, 0
	s_delay_alu instid0(VALU_DEP_3)
	v_add_co_ci_u32_e64 v6, s0, v7, v6, s0
	ds_store_b64 v8, v[5:6]
.LBB14_97:
	s_or_b32 exec_lo, exec_lo, s1
	v_lshlrev_b32_e32 v5, 3, v12
	s_lshl_b64 s[0:1], s[6:7], 3
	v_lshlrev_b32_e32 v6, 3, v11
	s_add_u32 s0, s20, s0
	s_addc_u32 s1, s21, s1
	v_add_co_u32 v5, s0, s0, v5
	s_delay_alu instid0(VALU_DEP_1) | instskip(SKIP_2) | instid1(VALU_DEP_2)
	v_add_co_ci_u32_e64 v7, null, s1, 0, s0
	s_waitcnt lgkmcnt(0)
	s_waitcnt_vscnt null, 0x0
	v_add_co_u32 v5, s0, v5, v6
	s_delay_alu instid0(VALU_DEP_1)
	v_add_co_ci_u32_e64 v6, s0, 0, v7, s0
	s_barrier
	buffer_gl0_inv
	v_lshlrev_b32_e32 v27, 1, v1
	s_clause 0x3
	global_load_b64 v[7:8], v[5:6], off
	global_load_b64 v[9:10], v[5:6], off offset:256
	global_load_b64 v[11:12], v[5:6], off offset:512
	global_load_b64 v[5:6], v[5:6], off offset:768
	v_lshlrev_b32_e32 v29, 1, v1
	v_lshlrev_b32_e32 v40, 3, v15
	v_lshlrev_b32_e32 v37, 3, v20
	ds_load_u16 v28, v27 offset:8192
	ds_load_u16 v19, v29 offset:2048
	;; [unrolled: 1-line block ×3, first 2 shown]
	v_lshlrev_b32_e32 v39, 3, v16
	v_lshlrev_b64 v[25:26], 1, v[1:2]
	v_or_b32_e32 v35, 0x800, v1
	v_or_b32_e32 v36, 0xc00, v1
	v_lshlrev_b32_e32 v0, 3, v0
	s_add_i32 s9, s9, -1
	s_delay_alu instid0(VALU_DEP_3) | instskip(NEXT) | instid1(VALU_DEP_3)
	v_lshlrev_b32_e32 v41, 1, v35
	v_lshlrev_b32_e32 v42, 1, v36
	s_cmp_eq_u32 s15, s9
	s_cselect_b32 s1, -1, 0
	s_delay_alu instid0(SALU_CYCLE_1)
	s_and_b32 s1, vcc_lo, s1
	s_waitcnt lgkmcnt(2)
	v_and_b32_e32 v14, 0xffff, v28
	s_waitcnt lgkmcnt(1)
	v_xor_b32_e32 v43, -1, v19
	s_waitcnt lgkmcnt(0)
	v_and_b32_e32 v21, 0xffff, v30
	v_xor_b32_e32 v30, -1, v30
	v_xor_b32_e32 v28, -1, v28
	v_lshrrev_b32_e32 v14, s28, v14
	s_delay_alu instid0(VALU_DEP_4) | instskip(NEXT) | instid1(VALU_DEP_2)
	v_lshrrev_b32_e32 v21, s28, v21
	v_and_b32_e32 v14, s10, v14
	s_delay_alu instid0(VALU_DEP_2) | instskip(NEXT) | instid1(VALU_DEP_2)
	v_and_b32_e32 v21, s10, v21
	v_lshlrev_b32_e32 v31, 3, v14
	ds_load_b64 v[17:18], v31
	ds_load_u16 v32, v27 offset:6144
	v_and_b32_e32 v14, 0xffff, v19
	v_lshlrev_b32_e32 v34, 3, v21
	s_delay_alu instid0(VALU_DEP_2) | instskip(NEXT) | instid1(VALU_DEP_1)
	v_lshrrev_b32_e32 v14, s28, v14
	v_and_b32_e32 v14, s10, v14
	s_delay_alu instid0(VALU_DEP_1)
	v_lshlrev_b32_e32 v33, 3, v14
	ds_load_b64 v[21:22], v33
	ds_load_b64 v[23:24], v34
	s_waitcnt lgkmcnt(2)
	v_and_b32_e32 v14, 0xffff, v32
	v_lshlrev_b64 v[16:17], 1, v[17:18]
	s_delay_alu instid0(VALU_DEP_2) | instskip(NEXT) | instid1(VALU_DEP_1)
	v_lshrrev_b32_e32 v14, s28, v14
	v_and_b32_e32 v14, s10, v14
	s_delay_alu instid0(VALU_DEP_1)
	v_lshlrev_b32_e32 v38, 3, v14
	s_waitcnt lgkmcnt(1)
	v_lshlrev_b64 v[19:20], 1, v[21:22]
	s_waitcnt lgkmcnt(0)
	v_lshlrev_b64 v[21:22], 1, v[23:24]
	ds_load_b64 v[14:15], v38
	v_xor_b32_e32 v23, -1, v32
	v_add_co_u32 v18, s0, s18, v19
	s_delay_alu instid0(VALU_DEP_1) | instskip(SKIP_1) | instid1(VALU_DEP_1)
	v_add_co_ci_u32_e64 v19, s0, s19, v20, s0
	v_add_co_u32 v20, s0, s18, v21
	v_add_co_ci_u32_e64 v21, s0, s19, v22, s0
	v_add_co_u32 v22, s0, s18, v16
	s_delay_alu instid0(VALU_DEP_1) | instskip(SKIP_1) | instid1(VALU_DEP_1)
	v_add_co_ci_u32_e64 v24, s0, s19, v17, s0
	v_add_co_u32 v16, s0, v18, v25
	v_add_co_ci_u32_e64 v17, s0, v19, v26, s0
	s_waitcnt lgkmcnt(0)
	v_lshlrev_b64 v[14:15], 1, v[14:15]
	s_delay_alu instid0(VALU_DEP_1) | instskip(NEXT) | instid1(VALU_DEP_1)
	v_add_co_u32 v18, s0, s18, v14
	v_add_co_ci_u32_e64 v19, s0, s19, v15, s0
	v_add_co_u32 v14, s0, v20, v25
	s_delay_alu instid0(VALU_DEP_1) | instskip(NEXT) | instid1(VALU_DEP_4)
	v_add_co_ci_u32_e64 v15, s0, v21, v26, s0
	v_add_co_u32 v18, s0, v18, v41
	s_delay_alu instid0(VALU_DEP_1) | instskip(SKIP_1) | instid1(VALU_DEP_1)
	v_add_co_ci_u32_e64 v19, s0, 0, v19, s0
	v_add_co_u32 v20, s0, v22, v42
	v_add_co_ci_u32_e64 v21, s0, 0, v24, s0
	s_clause 0x3
	global_store_b16 v[16:17], v43, off
	global_store_b16 v[14:15], v30, off offset:2048
	global_store_b16 v[18:19], v23, off
	global_store_b16 v[20:21], v28, off
	s_waitcnt vmcnt(0)
	s_waitcnt_vscnt null, 0x0
	s_barrier
	buffer_gl0_inv
	v_mad_i32_i24 v20, v1, 6, v29
	v_lshlrev_b64 v[18:19], 3, v[1:2]
	v_lshl_or_b32 v24, v1, 3, 0x2000
	v_lshlrev_b32_e32 v25, 3, v35
	v_lshlrev_b32_e32 v26, 3, v36
	ds_store_b64 v37, v[7:8] offset:2048
	ds_store_b64 v39, v[9:10] offset:2048
	;; [unrolled: 1-line block ×4, first 2 shown]
	s_waitcnt lgkmcnt(0)
	s_barrier
	buffer_gl0_inv
	ds_load_b64 v[9:10], v33
	ds_load_b64 v[11:12], v34
	;; [unrolled: 1-line block ×4, first 2 shown]
	v_or_b32_e32 v0, 0x800, v27
	s_delay_alu instid0(VALU_DEP_1)
	v_mad_u32_u24 v0, v1, 6, v0
	ds_load_2addr_stride64_b64 v[5:8], v0 offset0:16 offset1:32
	ds_load_b64 v[20:21], v20 offset:2048
	ds_load_b64 v[22:23], v0 offset:24576
	s_waitcnt lgkmcnt(6)
	v_lshlrev_b64 v[9:10], 3, v[9:10]
	s_waitcnt lgkmcnt(5)
	v_lshlrev_b64 v[11:12], 3, v[11:12]
	;; [unrolled: 2-line block ×4, first 2 shown]
	v_add_co_u32 v0, s0, s22, v9
	s_delay_alu instid0(VALU_DEP_1) | instskip(SKIP_1) | instid1(VALU_DEP_1)
	v_add_co_ci_u32_e64 v10, s0, s23, v10, s0
	v_add_co_u32 v11, s0, s22, v11
	v_add_co_ci_u32_e64 v12, s0, s23, v12, s0
	v_add_co_u32 v14, s0, s22, v14
	s_delay_alu instid0(VALU_DEP_1) | instskip(SKIP_1) | instid1(VALU_DEP_1)
	v_add_co_ci_u32_e64 v15, s0, s23, v15, s0
	v_add_co_u32 v16, s0, s22, v16
	v_add_co_ci_u32_e64 v17, s0, s23, v17, s0
	;; [unrolled: 5-line block ×4, first 2 shown]
	s_waitcnt lgkmcnt(1)
	s_clause 0x2
	global_store_b64 v[9:10], v[20:21], off
	global_store_b64 v[11:12], v[5:6], off
	global_store_b64 v[14:15], v[7:8], off
	s_waitcnt lgkmcnt(0)
	global_store_b64 v[16:17], v[22:23], off
                                        ; implicit-def: $vgpr5_vgpr6
	s_and_saveexec_b32 s0, s1
; %bb.98:
	v_add_co_u32 v5, vcc_lo, v3, v13
	v_add_co_ci_u32_e32 v6, vcc_lo, 0, v4, vcc_lo
	s_or_b32 s8, s8, exec_lo
; %bb.99:
	s_or_b32 exec_lo, exec_lo, s0
.LBB14_100:
	s_and_saveexec_b32 s0, s8
	s_cbranch_execnz .LBB14_102
; %bb.101:
	s_nop 0
	s_sendmsg sendmsg(MSG_DEALLOC_VGPRS)
	s_endpgm
.LBB14_102:
	v_lshlrev_b32_e32 v0, 3, v1
	ds_load_b64 v[3:4], v0
	v_lshlrev_b64 v[0:1], 3, v[1:2]
	s_delay_alu instid0(VALU_DEP_1) | instskip(NEXT) | instid1(VALU_DEP_2)
	v_add_co_u32 v0, vcc_lo, s26, v0
	v_add_co_ci_u32_e32 v1, vcc_lo, s27, v1, vcc_lo
	s_waitcnt lgkmcnt(0)
	v_add_co_u32 v2, vcc_lo, v3, v5
	v_add_co_ci_u32_e32 v3, vcc_lo, v4, v6, vcc_lo
	global_store_b64 v[0:1], v[2:3], off
	s_nop 0
	s_sendmsg sendmsg(MSG_DEALLOC_VGPRS)
	s_endpgm
.LBB14_103:
	global_load_b64 v[2:3], v[10:11], off
	s_or_b32 exec_lo, exec_lo, s10
                                        ; implicit-def: $vgpr4_vgpr5
	s_and_saveexec_b32 s10, s2
	s_cbranch_execz .LBB14_47
.LBB14_104:
	global_load_b64 v[4:5], v[10:11], off offset:256
	s_or_b32 exec_lo, exec_lo, s10
                                        ; implicit-def: $vgpr6_vgpr7
	s_and_saveexec_b32 s2, s3
	s_cbranch_execz .LBB14_48
.LBB14_105:
	global_load_b64 v[6:7], v[10:11], off offset:512
	s_or_b32 exec_lo, exec_lo, s2
                                        ; implicit-def: $vgpr8_vgpr9
	s_and_saveexec_b32 s2, s4
	s_cbranch_execnz .LBB14_49
	s_branch .LBB14_50
.LBB14_106:
	v_lshlrev_b32_e32 v3, 3, v24
	ds_load_b64 v[3:4], v3
	ds_load_b64 v[5:6], v2 offset:2048
	s_waitcnt lgkmcnt(1)
	v_lshlrev_b64 v[3:4], 3, v[3:4]
	s_delay_alu instid0(VALU_DEP_1) | instskip(NEXT) | instid1(VALU_DEP_2)
	v_add_co_u32 v3, vcc_lo, s22, v3
	v_add_co_ci_u32_e32 v4, vcc_lo, s23, v4, vcc_lo
	s_delay_alu instid0(VALU_DEP_2) | instskip(NEXT) | instid1(VALU_DEP_2)
	v_add_co_u32 v3, vcc_lo, v3, v2
	v_add_co_ci_u32_e32 v4, vcc_lo, 0, v4, vcc_lo
	s_waitcnt lgkmcnt(0)
	global_store_b64 v[3:4], v[5:6], off
	s_or_b32 exec_lo, exec_lo, s2
	s_and_saveexec_b32 s2, s7
	s_cbranch_execz .LBB14_60
.LBB14_107:
	v_lshlrev_b32_e32 v3, 3, v11
	v_lshlrev_b32_e32 v7, 3, v13
	ds_load_b64 v[3:4], v3
	ds_load_b64 v[5:6], v2 offset:10240
	s_waitcnt lgkmcnt(1)
	v_lshlrev_b64 v[3:4], 3, v[3:4]
	s_delay_alu instid0(VALU_DEP_1) | instskip(NEXT) | instid1(VALU_DEP_2)
	v_add_co_u32 v3, vcc_lo, s22, v3
	v_add_co_ci_u32_e32 v4, vcc_lo, s23, v4, vcc_lo
	s_delay_alu instid0(VALU_DEP_2) | instskip(NEXT) | instid1(VALU_DEP_2)
	v_add_co_u32 v3, vcc_lo, v3, v7
	v_add_co_ci_u32_e32 v4, vcc_lo, 0, v4, vcc_lo
	s_waitcnt lgkmcnt(0)
	global_store_b64 v[3:4], v[5:6], off
	s_or_b32 exec_lo, exec_lo, s2
	s_and_saveexec_b32 s2, s8
	s_cbranch_execz .LBB14_61
.LBB14_108:
	v_lshlrev_b32_e32 v3, 3, v23
	v_lshlrev_b32_e32 v7, 3, v15
	ds_load_b64 v[3:4], v3
	ds_load_b64 v[5:6], v2 offset:18432
	s_waitcnt lgkmcnt(1)
	v_lshlrev_b64 v[3:4], 3, v[3:4]
	s_delay_alu instid0(VALU_DEP_1) | instskip(NEXT) | instid1(VALU_DEP_2)
	v_add_co_u32 v3, vcc_lo, s22, v3
	v_add_co_ci_u32_e32 v4, vcc_lo, s23, v4, vcc_lo
	s_delay_alu instid0(VALU_DEP_2) | instskip(NEXT) | instid1(VALU_DEP_2)
	v_add_co_u32 v3, vcc_lo, v3, v7
	v_add_co_ci_u32_e32 v4, vcc_lo, 0, v4, vcc_lo
	s_waitcnt lgkmcnt(0)
	global_store_b64 v[3:4], v[5:6], off
	s_or_b32 exec_lo, exec_lo, s2
	s_and_saveexec_b32 s2, s9
	s_cbranch_execnz .LBB14_62
	s_branch .LBB14_63
	.section	.rodata,"a",@progbits
	.p2align	6, 0x0
	.amdhsa_kernel _ZN7rocprim17ROCPRIM_304000_NS6detail25onesweep_iteration_kernelINS1_34wrapped_radix_sort_onesweep_configINS0_14default_configEtN2at4cuda3cub6detail10OpaqueTypeILi8EEEEELb1EPKtPtPKSA_PSA_mNS0_19identity_decomposerEEEvT1_T2_T3_T4_jPT5_SO_PNS1_23onesweep_lookback_stateET6_jjj
		.amdhsa_group_segment_fixed_size 36992
		.amdhsa_private_segment_fixed_size 0
		.amdhsa_kernarg_size 336
		.amdhsa_user_sgpr_count 15
		.amdhsa_user_sgpr_dispatch_ptr 0
		.amdhsa_user_sgpr_queue_ptr 0
		.amdhsa_user_sgpr_kernarg_segment_ptr 1
		.amdhsa_user_sgpr_dispatch_id 0
		.amdhsa_user_sgpr_private_segment_size 0
		.amdhsa_wavefront_size32 1
		.amdhsa_uses_dynamic_stack 0
		.amdhsa_enable_private_segment 0
		.amdhsa_system_sgpr_workgroup_id_x 1
		.amdhsa_system_sgpr_workgroup_id_y 0
		.amdhsa_system_sgpr_workgroup_id_z 0
		.amdhsa_system_sgpr_workgroup_info 0
		.amdhsa_system_vgpr_workitem_id 2
		.amdhsa_next_free_vgpr 44
		.amdhsa_next_free_sgpr 36
		.amdhsa_reserve_vcc 1
		.amdhsa_float_round_mode_32 0
		.amdhsa_float_round_mode_16_64 0
		.amdhsa_float_denorm_mode_32 3
		.amdhsa_float_denorm_mode_16_64 3
		.amdhsa_dx10_clamp 1
		.amdhsa_ieee_mode 1
		.amdhsa_fp16_overflow 0
		.amdhsa_workgroup_processor_mode 1
		.amdhsa_memory_ordered 1
		.amdhsa_forward_progress 0
		.amdhsa_shared_vgpr_count 0
		.amdhsa_exception_fp_ieee_invalid_op 0
		.amdhsa_exception_fp_denorm_src 0
		.amdhsa_exception_fp_ieee_div_zero 0
		.amdhsa_exception_fp_ieee_overflow 0
		.amdhsa_exception_fp_ieee_underflow 0
		.amdhsa_exception_fp_ieee_inexact 0
		.amdhsa_exception_int_div_zero 0
	.end_amdhsa_kernel
	.section	.text._ZN7rocprim17ROCPRIM_304000_NS6detail25onesweep_iteration_kernelINS1_34wrapped_radix_sort_onesweep_configINS0_14default_configEtN2at4cuda3cub6detail10OpaqueTypeILi8EEEEELb1EPKtPtPKSA_PSA_mNS0_19identity_decomposerEEEvT1_T2_T3_T4_jPT5_SO_PNS1_23onesweep_lookback_stateET6_jjj,"axG",@progbits,_ZN7rocprim17ROCPRIM_304000_NS6detail25onesweep_iteration_kernelINS1_34wrapped_radix_sort_onesweep_configINS0_14default_configEtN2at4cuda3cub6detail10OpaqueTypeILi8EEEEELb1EPKtPtPKSA_PSA_mNS0_19identity_decomposerEEEvT1_T2_T3_T4_jPT5_SO_PNS1_23onesweep_lookback_stateET6_jjj,comdat
.Lfunc_end14:
	.size	_ZN7rocprim17ROCPRIM_304000_NS6detail25onesweep_iteration_kernelINS1_34wrapped_radix_sort_onesweep_configINS0_14default_configEtN2at4cuda3cub6detail10OpaqueTypeILi8EEEEELb1EPKtPtPKSA_PSA_mNS0_19identity_decomposerEEEvT1_T2_T3_T4_jPT5_SO_PNS1_23onesweep_lookback_stateET6_jjj, .Lfunc_end14-_ZN7rocprim17ROCPRIM_304000_NS6detail25onesweep_iteration_kernelINS1_34wrapped_radix_sort_onesweep_configINS0_14default_configEtN2at4cuda3cub6detail10OpaqueTypeILi8EEEEELb1EPKtPtPKSA_PSA_mNS0_19identity_decomposerEEEvT1_T2_T3_T4_jPT5_SO_PNS1_23onesweep_lookback_stateET6_jjj
                                        ; -- End function
	.section	.AMDGPU.csdata,"",@progbits
; Kernel info:
; codeLenInByte = 9076
; NumSgprs: 38
; NumVgprs: 44
; ScratchSize: 0
; MemoryBound: 0
; FloatMode: 240
; IeeeMode: 1
; LDSByteSize: 36992 bytes/workgroup (compile time only)
; SGPRBlocks: 4
; VGPRBlocks: 5
; NumSGPRsForWavesPerEU: 38
; NumVGPRsForWavesPerEU: 44
; Occupancy: 16
; WaveLimiterHint : 1
; COMPUTE_PGM_RSRC2:SCRATCH_EN: 0
; COMPUTE_PGM_RSRC2:USER_SGPR: 15
; COMPUTE_PGM_RSRC2:TRAP_HANDLER: 0
; COMPUTE_PGM_RSRC2:TGID_X_EN: 1
; COMPUTE_PGM_RSRC2:TGID_Y_EN: 0
; COMPUTE_PGM_RSRC2:TGID_Z_EN: 0
; COMPUTE_PGM_RSRC2:TIDIG_COMP_CNT: 2
	.section	.text._ZN7rocprim17ROCPRIM_304000_NS6detail25onesweep_iteration_kernelINS1_34wrapped_radix_sort_onesweep_configINS0_14default_configEtN2at4cuda3cub6detail10OpaqueTypeILi8EEEEELb1EPtSC_PSA_SD_mNS0_19identity_decomposerEEEvT1_T2_T3_T4_jPT5_SK_PNS1_23onesweep_lookback_stateET6_jjj,"axG",@progbits,_ZN7rocprim17ROCPRIM_304000_NS6detail25onesweep_iteration_kernelINS1_34wrapped_radix_sort_onesweep_configINS0_14default_configEtN2at4cuda3cub6detail10OpaqueTypeILi8EEEEELb1EPtSC_PSA_SD_mNS0_19identity_decomposerEEEvT1_T2_T3_T4_jPT5_SK_PNS1_23onesweep_lookback_stateET6_jjj,comdat
	.protected	_ZN7rocprim17ROCPRIM_304000_NS6detail25onesweep_iteration_kernelINS1_34wrapped_radix_sort_onesweep_configINS0_14default_configEtN2at4cuda3cub6detail10OpaqueTypeILi8EEEEELb1EPtSC_PSA_SD_mNS0_19identity_decomposerEEEvT1_T2_T3_T4_jPT5_SK_PNS1_23onesweep_lookback_stateET6_jjj ; -- Begin function _ZN7rocprim17ROCPRIM_304000_NS6detail25onesweep_iteration_kernelINS1_34wrapped_radix_sort_onesweep_configINS0_14default_configEtN2at4cuda3cub6detail10OpaqueTypeILi8EEEEELb1EPtSC_PSA_SD_mNS0_19identity_decomposerEEEvT1_T2_T3_T4_jPT5_SK_PNS1_23onesweep_lookback_stateET6_jjj
	.globl	_ZN7rocprim17ROCPRIM_304000_NS6detail25onesweep_iteration_kernelINS1_34wrapped_radix_sort_onesweep_configINS0_14default_configEtN2at4cuda3cub6detail10OpaqueTypeILi8EEEEELb1EPtSC_PSA_SD_mNS0_19identity_decomposerEEEvT1_T2_T3_T4_jPT5_SK_PNS1_23onesweep_lookback_stateET6_jjj
	.p2align	8
	.type	_ZN7rocprim17ROCPRIM_304000_NS6detail25onesweep_iteration_kernelINS1_34wrapped_radix_sort_onesweep_configINS0_14default_configEtN2at4cuda3cub6detail10OpaqueTypeILi8EEEEELb1EPtSC_PSA_SD_mNS0_19identity_decomposerEEEvT1_T2_T3_T4_jPT5_SK_PNS1_23onesweep_lookback_stateET6_jjj,@function
_ZN7rocprim17ROCPRIM_304000_NS6detail25onesweep_iteration_kernelINS1_34wrapped_radix_sort_onesweep_configINS0_14default_configEtN2at4cuda3cub6detail10OpaqueTypeILi8EEEEELb1EPtSC_PSA_SD_mNS0_19identity_decomposerEEEvT1_T2_T3_T4_jPT5_SK_PNS1_23onesweep_lookback_stateET6_jjj: ; @_ZN7rocprim17ROCPRIM_304000_NS6detail25onesweep_iteration_kernelINS1_34wrapped_radix_sort_onesweep_configINS0_14default_configEtN2at4cuda3cub6detail10OpaqueTypeILi8EEEEELb1EPtSC_PSA_SD_mNS0_19identity_decomposerEEEvT1_T2_T3_T4_jPT5_SK_PNS1_23onesweep_lookback_stateET6_jjj
; %bb.0:
	s_clause 0x3
	s_load_b128 s[28:31], s[0:1], 0x44
	s_load_b256 s[16:23], s[0:1], 0x0
	s_load_b128 s[24:27], s[0:1], 0x28
	s_load_b64 s[12:13], s[0:1], 0x38
	v_and_b32_e32 v1, 0x3ff, v0
	v_mbcnt_lo_u32_b32 v12, -1, 0
	s_waitcnt lgkmcnt(0)
	s_cmp_ge_u32 s15, s30
	s_cbranch_scc0 .LBB15_66
; %bb.1:
	s_load_b32 s6, s[0:1], 0x20
	s_mov_b32 s31, 0
	s_lshl_b32 s7, s30, 12
	s_mov_b32 s4, s31
	s_mov_b32 s5, s31
	v_lshlrev_b32_e32 v11, 2, v1
	s_lshl_b32 s30, s15, 12
	v_lshlrev_b32_e32 v2, 1, v12
	s_lshl_b64 s[2:3], s[30:31], 1
	s_delay_alu instid0(VALU_DEP_2) | instskip(NEXT) | instid1(VALU_DEP_1)
	v_and_b32_e32 v10, 0xf80, v11
	v_lshlrev_b32_e32 v3, 1, v10
	s_waitcnt lgkmcnt(0)
	s_sub_i32 s34, s6, s7
	s_add_u32 s2, s16, s2
	s_addc_u32 s3, s17, s3
	v_add_co_u32 v2, s2, s2, v2
	s_delay_alu instid0(VALU_DEP_1) | instskip(NEXT) | instid1(VALU_DEP_2)
	v_add_co_ci_u32_e64 v5, null, s3, 0, s2
	v_add_co_u32 v4, s2, v2, v3
	v_dual_mov_b32 v2, s4 :: v_dual_mov_b32 v3, s5
	v_or_b32_e32 v6, v12, v10
	s_delay_alu instid0(VALU_DEP_4) | instskip(NEXT) | instid1(VALU_DEP_2)
	v_add_co_ci_u32_e64 v5, s2, 0, v5, s2
	v_cmp_gt_u32_e32 vcc_lo, s34, v6
	s_and_saveexec_b32 s2, vcc_lo
	s_cbranch_execz .LBB15_3
; %bb.2:
	v_dual_mov_b32 v2, 0 :: v_dual_mov_b32 v3, 0
	global_load_d16_b16 v2, v[4:5], off
.LBB15_3:
	s_or_b32 exec_lo, exec_lo, s2
	v_add_nc_u32_e32 v7, 32, v6
	s_delay_alu instid0(VALU_DEP_1) | instskip(NEXT) | instid1(VALU_DEP_1)
	v_cmp_gt_u32_e64 s2, s34, v7
	s_and_saveexec_b32 s3, s2
	s_cbranch_execz .LBB15_5
; %bb.4:
	global_load_d16_hi_b16 v2, v[4:5], off offset:64
.LBB15_5:
	s_or_b32 exec_lo, exec_lo, s3
	v_add_nc_u32_e32 v7, 64, v6
	s_delay_alu instid0(VALU_DEP_1) | instskip(NEXT) | instid1(VALU_DEP_1)
	v_cmp_gt_u32_e64 s3, s34, v7
	s_and_saveexec_b32 s4, s3
	s_cbranch_execz .LBB15_7
; %bb.6:
	global_load_d16_b16 v3, v[4:5], off offset:128
.LBB15_7:
	s_or_b32 exec_lo, exec_lo, s4
	v_add_nc_u32_e32 v6, 0x60, v6
	s_delay_alu instid0(VALU_DEP_1) | instskip(NEXT) | instid1(VALU_DEP_1)
	v_cmp_gt_u32_e64 s4, s34, v6
	s_and_saveexec_b32 s5, s4
	s_cbranch_execz .LBB15_9
; %bb.8:
	global_load_d16_hi_b16 v3, v[4:5], off offset:192
.LBB15_9:
	s_or_b32 exec_lo, exec_lo, s5
	s_clause 0x1
	s_load_b32 s5, s[0:1], 0x5c
	s_load_b32 s14, s[0:1], 0x50
	s_waitcnt vmcnt(0)
	v_xor_b32_e32 v13, -1, v2
	s_add_u32 s6, s0, 0x50
	s_addc_u32 s7, s1, 0
	s_delay_alu instid0(VALU_DEP_1) | instskip(NEXT) | instid1(VALU_DEP_1)
	v_and_b32_e32 v4, 0xffff, v13
	v_lshrrev_b32_e32 v4, s28, v4
	s_waitcnt lgkmcnt(0)
	s_lshr_b32 s8, s5, 16
	s_cmp_lt_u32 s15, s14
	s_cselect_b32 s5, 12, 18
	s_delay_alu instid0(SALU_CYCLE_1) | instskip(SKIP_2) | instid1(SALU_CYCLE_1)
	s_add_u32 s6, s6, s5
	s_addc_u32 s7, s7, 0
	s_lshl_b32 s5, -1, s29
	s_not_b32 s33, s5
	s_delay_alu instid0(SALU_CYCLE_1) | instskip(SKIP_2) | instid1(VALU_DEP_3)
	v_and_b32_e32 v8, s33, v4
	v_mov_b32_e32 v6, 0
	v_bfe_u32 v4, v0, 10, 10
	v_and_b32_e32 v5, 1, v8
	global_load_u16 v7, v6, s[6:7]
	v_lshlrev_b32_e32 v9, 30, v8
	v_lshlrev_b32_e32 v14, 29, v8
	v_lshlrev_b32_e32 v15, 28, v8
	v_add_co_u32 v5, s5, v5, -1
	s_delay_alu instid0(VALU_DEP_1)
	v_cndmask_b32_e64 v16, 0, 1, s5
	v_not_b32_e32 v20, v9
	v_cmp_gt_i32_e64 s6, 0, v9
	v_not_b32_e32 v9, v14
	v_lshlrev_b32_e32 v17, 27, v8
	v_cmp_ne_u32_e64 s5, 0, v16
	v_ashrrev_i32_e32 v20, 31, v20
	v_lshlrev_b32_e32 v18, 26, v8
	v_ashrrev_i32_e32 v9, 31, v9
	v_lshlrev_b32_e32 v19, 25, v8
	v_xor_b32_e32 v5, s5, v5
	v_cmp_gt_i32_e64 s5, 0, v14
	v_not_b32_e32 v14, v15
	v_xor_b32_e32 v20, s6, v20
	v_cmp_gt_i32_e64 s6, 0, v15
	v_and_b32_e32 v5, exec_lo, v5
	v_not_b32_e32 v15, v17
	v_ashrrev_i32_e32 v14, 31, v14
	v_xor_b32_e32 v9, s5, v9
	v_cmp_gt_i32_e64 s5, 0, v17
	v_and_b32_e32 v5, v5, v20
	v_not_b32_e32 v17, v18
	v_ashrrev_i32_e32 v15, 31, v15
	v_xor_b32_e32 v14, s6, v14
	v_lshlrev_b32_e32 v16, 24, v8
	v_and_b32_e32 v5, v5, v9
	v_cmp_gt_i32_e64 s6, 0, v18
	v_not_b32_e32 v9, v19
	v_ashrrev_i32_e32 v17, 31, v17
	v_xor_b32_e32 v15, s5, v15
	v_and_b32_e32 v5, v5, v14
	v_cmp_gt_i32_e64 s5, 0, v19
	v_not_b32_e32 v14, v16
	v_ashrrev_i32_e32 v9, 31, v9
	v_xor_b32_e32 v17, s6, v17
	v_and_b32_e32 v5, v5, v15
	v_bfe_u32 v15, v0, 20, 10
	v_cmp_gt_i32_e64 s6, 0, v16
	v_ashrrev_i32_e32 v14, 31, v14
	v_xor_b32_e32 v9, s5, v9
	v_and_b32_e32 v5, v5, v17
	v_mad_u32_u24 v15, v15, s8, v4
	v_mul_u32_u24_e32 v16, 9, v1
	v_xor_b32_e32 v14, s6, v14
	s_delay_alu instid0(VALU_DEP_4) | instskip(NEXT) | instid1(VALU_DEP_3)
	v_and_b32_e32 v9, v5, v9
	v_lshlrev_b32_e32 v16, 2, v16
	ds_store_2addr_b32 v16, v6, v6 offset0:32 offset1:33
	ds_store_2addr_b32 v16, v6, v6 offset0:34 offset1:35
	;; [unrolled: 1-line block ×4, first 2 shown]
	ds_store_b32 v16, v6 offset:160
	v_mul_u32_u24_e32 v6, 33, v8
	s_waitcnt vmcnt(0) lgkmcnt(0)
	s_barrier
	buffer_gl0_inv
	; wave barrier
	v_mad_u64_u32 v[4:5], null, v15, v7, v[1:2]
	v_and_b32_e32 v5, v9, v14
	s_delay_alu instid0(VALU_DEP_1) | instskip(NEXT) | instid1(VALU_DEP_3)
	v_mbcnt_lo_u32_b32 v14, v5, 0
	v_lshrrev_b32_e32 v4, 5, v4
	v_cmp_ne_u32_e64 s6, 0, v5
	s_delay_alu instid0(VALU_DEP_3) | instskip(NEXT) | instid1(VALU_DEP_3)
	v_cmp_eq_u32_e64 s5, 0, v14
	v_add_lshl_u32 v17, v4, v6, 2
	s_delay_alu instid0(VALU_DEP_2) | instskip(NEXT) | instid1(SALU_CYCLE_1)
	s_and_b32 s6, s6, s5
	s_and_saveexec_b32 s5, s6
	s_cbranch_execz .LBB15_11
; %bb.10:
	v_bcnt_u32_b32 v5, v5, 0
	ds_store_b32 v17, v5 offset:128
.LBB15_11:
	s_or_b32 exec_lo, exec_lo, s5
	v_lshrrev_b32_e32 v2, 16, v2
	; wave barrier
	s_delay_alu instid0(VALU_DEP_1) | instskip(NEXT) | instid1(VALU_DEP_1)
	v_xor_b32_e32 v15, -1, v2
	v_and_b32_e32 v2, 0xffff, v15
	s_delay_alu instid0(VALU_DEP_1) | instskip(NEXT) | instid1(VALU_DEP_1)
	v_lshrrev_b32_e32 v2, s28, v2
	v_and_b32_e32 v2, s33, v2
	s_delay_alu instid0(VALU_DEP_1)
	v_and_b32_e32 v5, 1, v2
	v_lshlrev_b32_e32 v6, 30, v2
	v_lshlrev_b32_e32 v7, 29, v2
	;; [unrolled: 1-line block ×4, first 2 shown]
	v_add_co_u32 v5, s5, v5, -1
	s_delay_alu instid0(VALU_DEP_1)
	v_cndmask_b32_e64 v9, 0, 1, s5
	v_not_b32_e32 v21, v6
	v_cmp_gt_i32_e64 s6, 0, v6
	v_not_b32_e32 v6, v7
	v_lshlrev_b32_e32 v19, 26, v2
	v_cmp_ne_u32_e64 s5, 0, v9
	v_ashrrev_i32_e32 v21, 31, v21
	v_lshlrev_b32_e32 v20, 25, v2
	v_ashrrev_i32_e32 v6, 31, v6
	v_lshlrev_b32_e32 v9, 24, v2
	v_xor_b32_e32 v5, s5, v5
	v_cmp_gt_i32_e64 s5, 0, v7
	v_not_b32_e32 v7, v8
	v_xor_b32_e32 v21, s6, v21
	v_cmp_gt_i32_e64 s6, 0, v8
	v_and_b32_e32 v5, exec_lo, v5
	v_not_b32_e32 v8, v18
	v_ashrrev_i32_e32 v7, 31, v7
	v_xor_b32_e32 v6, s5, v6
	v_cmp_gt_i32_e64 s5, 0, v18
	v_and_b32_e32 v5, v5, v21
	v_not_b32_e32 v18, v19
	v_ashrrev_i32_e32 v8, 31, v8
	v_xor_b32_e32 v7, s6, v7
	v_cmp_gt_i32_e64 s6, 0, v19
	v_and_b32_e32 v5, v5, v6
	;; [unrolled: 5-line block ×3, first 2 shown]
	v_not_b32_e32 v7, v9
	v_ashrrev_i32_e32 v6, 31, v6
	v_xor_b32_e32 v18, s6, v18
	v_mul_u32_u24_e32 v2, 33, v2
	v_and_b32_e32 v5, v5, v8
	v_cmp_gt_i32_e64 s6, 0, v9
	v_ashrrev_i32_e32 v7, 31, v7
	v_xor_b32_e32 v6, s5, v6
	v_add_lshl_u32 v21, v4, v2, 2
	v_and_b32_e32 v5, v5, v18
	s_delay_alu instid0(VALU_DEP_4) | instskip(SKIP_2) | instid1(VALU_DEP_1)
	v_xor_b32_e32 v2, s6, v7
	ds_load_b32 v18, v21 offset:128
	v_and_b32_e32 v5, v5, v6
	; wave barrier
	v_and_b32_e32 v2, v5, v2
	s_delay_alu instid0(VALU_DEP_1) | instskip(SKIP_1) | instid1(VALU_DEP_2)
	v_mbcnt_lo_u32_b32 v19, v2, 0
	v_cmp_ne_u32_e64 s6, 0, v2
	v_cmp_eq_u32_e64 s5, 0, v19
	s_delay_alu instid0(VALU_DEP_1) | instskip(NEXT) | instid1(SALU_CYCLE_1)
	s_and_b32 s6, s6, s5
	s_and_saveexec_b32 s5, s6
	s_cbranch_execz .LBB15_13
; %bb.12:
	s_waitcnt lgkmcnt(0)
	v_bcnt_u32_b32 v2, v2, v18
	ds_store_b32 v21, v2 offset:128
.LBB15_13:
	s_or_b32 exec_lo, exec_lo, s5
	v_xor_b32_e32 v20, -1, v3
	; wave barrier
	s_delay_alu instid0(VALU_DEP_1) | instskip(NEXT) | instid1(VALU_DEP_1)
	v_and_b32_e32 v2, 0xffff, v20
	v_lshrrev_b32_e32 v2, s28, v2
	s_delay_alu instid0(VALU_DEP_1) | instskip(NEXT) | instid1(VALU_DEP_1)
	v_and_b32_e32 v2, s33, v2
	v_and_b32_e32 v5, 1, v2
	v_lshlrev_b32_e32 v6, 30, v2
	v_lshlrev_b32_e32 v7, 29, v2
	;; [unrolled: 1-line block ×4, first 2 shown]
	v_add_co_u32 v5, s5, v5, -1
	s_delay_alu instid0(VALU_DEP_1)
	v_cndmask_b32_e64 v9, 0, 1, s5
	v_not_b32_e32 v25, v6
	v_cmp_gt_i32_e64 s6, 0, v6
	v_not_b32_e32 v6, v7
	v_lshlrev_b32_e32 v23, 26, v2
	v_cmp_ne_u32_e64 s5, 0, v9
	v_ashrrev_i32_e32 v25, 31, v25
	v_lshlrev_b32_e32 v24, 25, v2
	v_ashrrev_i32_e32 v6, 31, v6
	v_lshlrev_b32_e32 v9, 24, v2
	v_xor_b32_e32 v5, s5, v5
	v_cmp_gt_i32_e64 s5, 0, v7
	v_not_b32_e32 v7, v8
	v_xor_b32_e32 v25, s6, v25
	v_cmp_gt_i32_e64 s6, 0, v8
	v_and_b32_e32 v5, exec_lo, v5
	v_not_b32_e32 v8, v22
	v_ashrrev_i32_e32 v7, 31, v7
	v_xor_b32_e32 v6, s5, v6
	v_cmp_gt_i32_e64 s5, 0, v22
	v_and_b32_e32 v5, v5, v25
	v_not_b32_e32 v22, v23
	v_ashrrev_i32_e32 v8, 31, v8
	v_xor_b32_e32 v7, s6, v7
	v_cmp_gt_i32_e64 s6, 0, v23
	v_and_b32_e32 v5, v5, v6
	;; [unrolled: 5-line block ×3, first 2 shown]
	v_not_b32_e32 v7, v9
	v_ashrrev_i32_e32 v6, 31, v6
	v_xor_b32_e32 v22, s6, v22
	v_mul_u32_u24_e32 v2, 33, v2
	v_and_b32_e32 v5, v5, v8
	v_cmp_gt_i32_e64 s6, 0, v9
	v_ashrrev_i32_e32 v7, 31, v7
	v_xor_b32_e32 v6, s5, v6
	v_add_lshl_u32 v25, v4, v2, 2
	v_and_b32_e32 v5, v5, v22
	s_delay_alu instid0(VALU_DEP_4) | instskip(SKIP_2) | instid1(VALU_DEP_1)
	v_xor_b32_e32 v2, s6, v7
	ds_load_b32 v22, v25 offset:128
	v_and_b32_e32 v5, v5, v6
	; wave barrier
	v_and_b32_e32 v2, v5, v2
	s_delay_alu instid0(VALU_DEP_1) | instskip(SKIP_1) | instid1(VALU_DEP_2)
	v_mbcnt_lo_u32_b32 v23, v2, 0
	v_cmp_ne_u32_e64 s6, 0, v2
	v_cmp_eq_u32_e64 s5, 0, v23
	s_delay_alu instid0(VALU_DEP_1) | instskip(NEXT) | instid1(SALU_CYCLE_1)
	s_and_b32 s6, s6, s5
	s_and_saveexec_b32 s5, s6
	s_cbranch_execz .LBB15_15
; %bb.14:
	s_waitcnt lgkmcnt(0)
	v_bcnt_u32_b32 v2, v2, v22
	ds_store_b32 v25, v2 offset:128
.LBB15_15:
	s_or_b32 exec_lo, exec_lo, s5
	v_lshrrev_b32_e32 v2, 16, v3
	; wave barrier
	v_add_nc_u32_e32 v29, 0x80, v16
	s_delay_alu instid0(VALU_DEP_2) | instskip(NEXT) | instid1(VALU_DEP_1)
	v_xor_b32_e32 v24, -1, v2
	v_and_b32_e32 v2, 0xffff, v24
	s_delay_alu instid0(VALU_DEP_1) | instskip(NEXT) | instid1(VALU_DEP_1)
	v_lshrrev_b32_e32 v2, s28, v2
	v_and_b32_e32 v2, s33, v2
	s_delay_alu instid0(VALU_DEP_1)
	v_and_b32_e32 v3, 1, v2
	v_lshlrev_b32_e32 v5, 30, v2
	v_lshlrev_b32_e32 v6, 29, v2
	;; [unrolled: 1-line block ×4, first 2 shown]
	v_add_co_u32 v3, s5, v3, -1
	s_delay_alu instid0(VALU_DEP_1)
	v_cndmask_b32_e64 v8, 0, 1, s5
	v_not_b32_e32 v28, v5
	v_cmp_gt_i32_e64 s6, 0, v5
	v_not_b32_e32 v5, v6
	v_lshlrev_b32_e32 v26, 26, v2
	v_cmp_ne_u32_e64 s5, 0, v8
	v_ashrrev_i32_e32 v28, 31, v28
	v_lshlrev_b32_e32 v27, 25, v2
	v_ashrrev_i32_e32 v5, 31, v5
	v_lshlrev_b32_e32 v8, 24, v2
	v_xor_b32_e32 v3, s5, v3
	v_cmp_gt_i32_e64 s5, 0, v6
	v_not_b32_e32 v6, v7
	v_xor_b32_e32 v28, s6, v28
	v_cmp_gt_i32_e64 s6, 0, v7
	v_and_b32_e32 v3, exec_lo, v3
	v_not_b32_e32 v7, v9
	v_ashrrev_i32_e32 v6, 31, v6
	v_xor_b32_e32 v5, s5, v5
	v_cmp_gt_i32_e64 s5, 0, v9
	v_and_b32_e32 v3, v3, v28
	v_not_b32_e32 v9, v26
	v_ashrrev_i32_e32 v7, 31, v7
	v_xor_b32_e32 v6, s6, v6
	v_cmp_gt_i32_e64 s6, 0, v26
	v_and_b32_e32 v3, v3, v5
	;; [unrolled: 5-line block ×3, first 2 shown]
	v_not_b32_e32 v6, v8
	v_ashrrev_i32_e32 v5, 31, v5
	v_xor_b32_e32 v9, s6, v9
	v_mul_u32_u24_e32 v2, 33, v2
	v_and_b32_e32 v3, v3, v7
	v_cmp_gt_i32_e64 s6, 0, v8
	v_ashrrev_i32_e32 v6, 31, v6
	v_xor_b32_e32 v5, s5, v5
	v_add_lshl_u32 v28, v4, v2, 2
	v_and_b32_e32 v3, v3, v9
	s_delay_alu instid0(VALU_DEP_4) | instskip(SKIP_2) | instid1(VALU_DEP_1)
	v_xor_b32_e32 v2, s6, v6
	ds_load_b32 v26, v28 offset:128
	v_and_b32_e32 v3, v3, v5
	; wave barrier
	v_and_b32_e32 v2, v3, v2
	s_delay_alu instid0(VALU_DEP_1) | instskip(SKIP_1) | instid1(VALU_DEP_2)
	v_mbcnt_lo_u32_b32 v27, v2, 0
	v_cmp_ne_u32_e64 s6, 0, v2
	v_cmp_eq_u32_e64 s5, 0, v27
	s_delay_alu instid0(VALU_DEP_1) | instskip(NEXT) | instid1(SALU_CYCLE_1)
	s_and_b32 s6, s6, s5
	s_and_saveexec_b32 s5, s6
	s_cbranch_execz .LBB15_17
; %bb.16:
	s_waitcnt lgkmcnt(0)
	v_bcnt_u32_b32 v2, v2, v26
	ds_store_b32 v28, v2 offset:128
.LBB15_17:
	s_or_b32 exec_lo, exec_lo, s5
	; wave barrier
	s_waitcnt lgkmcnt(0)
	s_barrier
	buffer_gl0_inv
	ds_load_2addr_b32 v[8:9], v16 offset0:32 offset1:33
	ds_load_2addr_b32 v[6:7], v29 offset0:2 offset1:3
	;; [unrolled: 1-line block ×4, first 2 shown]
	ds_load_b32 v30, v29 offset:32
	v_and_b32_e32 v33, 16, v12
	v_and_b32_e32 v34, 31, v1
	s_mov_b32 s11, exec_lo
	s_delay_alu instid0(VALU_DEP_2) | instskip(SKIP_3) | instid1(VALU_DEP_1)
	v_cmp_eq_u32_e64 s9, 0, v33
	s_waitcnt lgkmcnt(3)
	v_add3_u32 v31, v9, v8, v6
	s_waitcnt lgkmcnt(2)
	v_add3_u32 v31, v31, v7, v4
	s_waitcnt lgkmcnt(1)
	s_delay_alu instid0(VALU_DEP_1) | instskip(SKIP_1) | instid1(VALU_DEP_1)
	v_add3_u32 v31, v31, v5, v2
	s_waitcnt lgkmcnt(0)
	v_add3_u32 v30, v31, v3, v30
	v_and_b32_e32 v31, 15, v12
	s_delay_alu instid0(VALU_DEP_2) | instskip(NEXT) | instid1(VALU_DEP_2)
	v_mov_b32_dpp v32, v30 row_shr:1 row_mask:0xf bank_mask:0xf
	v_cmp_eq_u32_e64 s5, 0, v31
	v_cmp_lt_u32_e64 s6, 1, v31
	v_cmp_lt_u32_e64 s7, 3, v31
	v_cmp_lt_u32_e64 s8, 7, v31
	s_delay_alu instid0(VALU_DEP_4) | instskip(NEXT) | instid1(VALU_DEP_1)
	v_cndmask_b32_e64 v32, v32, 0, s5
	v_add_nc_u32_e32 v30, v32, v30
	s_delay_alu instid0(VALU_DEP_1) | instskip(NEXT) | instid1(VALU_DEP_1)
	v_mov_b32_dpp v32, v30 row_shr:2 row_mask:0xf bank_mask:0xf
	v_cndmask_b32_e64 v32, 0, v32, s6
	s_delay_alu instid0(VALU_DEP_1) | instskip(NEXT) | instid1(VALU_DEP_1)
	v_add_nc_u32_e32 v30, v30, v32
	v_mov_b32_dpp v32, v30 row_shr:4 row_mask:0xf bank_mask:0xf
	s_delay_alu instid0(VALU_DEP_1) | instskip(NEXT) | instid1(VALU_DEP_1)
	v_cndmask_b32_e64 v32, 0, v32, s7
	v_add_nc_u32_e32 v30, v30, v32
	s_delay_alu instid0(VALU_DEP_1) | instskip(NEXT) | instid1(VALU_DEP_1)
	v_mov_b32_dpp v32, v30 row_shr:8 row_mask:0xf bank_mask:0xf
	v_cndmask_b32_e64 v31, 0, v32, s8
	v_bfe_i32 v32, v12, 4, 1
	s_delay_alu instid0(VALU_DEP_2) | instskip(SKIP_4) | instid1(VALU_DEP_2)
	v_add_nc_u32_e32 v30, v30, v31
	ds_swizzle_b32 v31, v30 offset:swizzle(BROADCAST,32,15)
	s_waitcnt lgkmcnt(0)
	v_and_b32_e32 v32, v32, v31
	v_lshrrev_b32_e32 v31, 5, v1
	v_add_nc_u32_e32 v30, v30, v32
	v_cmpx_eq_u32_e32 31, v34
	s_cbranch_execz .LBB15_19
; %bb.18:
	s_delay_alu instid0(VALU_DEP_3)
	v_lshlrev_b32_e32 v32, 2, v31
	ds_store_b32 v32, v30
.LBB15_19:
	s_or_b32 exec_lo, exec_lo, s11
	v_cmp_lt_u32_e64 s10, 31, v1
	s_mov_b32 s35, exec_lo
	s_waitcnt lgkmcnt(0)
	s_barrier
	buffer_gl0_inv
	v_cmpx_gt_u32_e32 32, v1
	s_cbranch_execz .LBB15_21
; %bb.20:
	ds_load_b32 v32, v11
	s_waitcnt lgkmcnt(0)
	v_mov_b32_dpp v33, v32 row_shr:1 row_mask:0xf bank_mask:0xf
	s_delay_alu instid0(VALU_DEP_1) | instskip(NEXT) | instid1(VALU_DEP_1)
	v_cndmask_b32_e64 v33, v33, 0, s5
	v_add_nc_u32_e32 v32, v33, v32
	s_delay_alu instid0(VALU_DEP_1) | instskip(NEXT) | instid1(VALU_DEP_1)
	v_mov_b32_dpp v33, v32 row_shr:2 row_mask:0xf bank_mask:0xf
	v_cndmask_b32_e64 v33, 0, v33, s6
	s_delay_alu instid0(VALU_DEP_1) | instskip(NEXT) | instid1(VALU_DEP_1)
	v_add_nc_u32_e32 v32, v32, v33
	v_mov_b32_dpp v33, v32 row_shr:4 row_mask:0xf bank_mask:0xf
	s_delay_alu instid0(VALU_DEP_1) | instskip(NEXT) | instid1(VALU_DEP_1)
	v_cndmask_b32_e64 v33, 0, v33, s7
	v_add_nc_u32_e32 v32, v32, v33
	s_delay_alu instid0(VALU_DEP_1) | instskip(NEXT) | instid1(VALU_DEP_1)
	v_mov_b32_dpp v33, v32 row_shr:8 row_mask:0xf bank_mask:0xf
	v_cndmask_b32_e64 v33, 0, v33, s8
	s_delay_alu instid0(VALU_DEP_1) | instskip(SKIP_3) | instid1(VALU_DEP_1)
	v_add_nc_u32_e32 v32, v32, v33
	ds_swizzle_b32 v33, v32 offset:swizzle(BROADCAST,32,15)
	s_waitcnt lgkmcnt(0)
	v_cndmask_b32_e64 v33, v33, 0, s9
	v_add_nc_u32_e32 v32, v32, v33
	ds_store_b32 v11, v32
.LBB15_21:
	s_or_b32 exec_lo, exec_lo, s35
	v_mov_b32_e32 v11, 0
	s_waitcnt lgkmcnt(0)
	s_barrier
	buffer_gl0_inv
	s_and_saveexec_b32 s5, s10
	s_cbranch_execz .LBB15_23
; %bb.22:
	v_lshl_add_u32 v11, v31, 2, -4
	ds_load_b32 v11, v11
.LBB15_23:
	s_or_b32 exec_lo, exec_lo, s5
	v_add_nc_u32_e32 v31, -1, v12
	s_waitcnt lgkmcnt(0)
	v_add_nc_u32_e32 v30, v11, v30
	s_delay_alu instid0(VALU_DEP_2) | instskip(NEXT) | instid1(VALU_DEP_1)
	v_cmp_gt_i32_e64 s5, 0, v31
	v_cndmask_b32_e64 v31, v31, v12, s5
	v_cmp_eq_u32_e64 s5, 0, v12
	s_delay_alu instid0(VALU_DEP_2) | instskip(SKIP_4) | instid1(VALU_DEP_1)
	v_lshlrev_b32_e32 v31, 2, v31
	ds_bpermute_b32 v30, v31, v30
	s_waitcnt lgkmcnt(0)
	v_cndmask_b32_e64 v11, v30, v11, s5
	v_cmp_ne_u32_e64 s5, 0, v1
	v_cndmask_b32_e64 v11, 0, v11, s5
	v_cmp_gt_u32_e64 s5, 0x100, v1
	s_delay_alu instid0(VALU_DEP_2) | instskip(NEXT) | instid1(VALU_DEP_1)
	v_add_nc_u32_e32 v8, v11, v8
	v_add_nc_u32_e32 v9, v8, v9
	s_delay_alu instid0(VALU_DEP_1) | instskip(NEXT) | instid1(VALU_DEP_1)
	v_add_nc_u32_e32 v6, v9, v6
	v_add_nc_u32_e32 v7, v6, v7
	s_delay_alu instid0(VALU_DEP_1) | instskip(NEXT) | instid1(VALU_DEP_1)
	;; [unrolled: 3-line block ×3, first 2 shown]
	v_add_nc_u32_e32 v2, v5, v2
	v_add_nc_u32_e32 v3, v2, v3
	ds_store_2addr_b32 v16, v11, v8 offset0:32 offset1:33
	ds_store_2addr_b32 v29, v9, v6 offset0:2 offset1:3
	ds_store_2addr_b32 v29, v7, v4 offset0:4 offset1:5
	ds_store_2addr_b32 v29, v5, v2 offset0:6 offset1:7
	ds_store_b32 v29, v3 offset:32
	s_waitcnt lgkmcnt(0)
	s_barrier
	buffer_gl0_inv
	ds_load_b32 v2, v17 offset:128
	ds_load_b32 v3, v21 offset:128
	;; [unrolled: 1-line block ×4, first 2 shown]
                                        ; implicit-def: $vgpr16
                                        ; implicit-def: $vgpr17
	s_and_saveexec_b32 s7, s5
	s_cbranch_execz .LBB15_27
; %bb.24:
	v_mul_u32_u24_e32 v6, 33, v1
	s_mov_b32 s8, exec_lo
	s_delay_alu instid0(VALU_DEP_1)
	v_dual_mov_b32 v6, 0x1000 :: v_dual_lshlrev_b32 v7, 2, v6
	ds_load_b32 v16, v7 offset:128
	v_cmpx_ne_u32_e32 0xff, v1
	s_cbranch_execz .LBB15_26
; %bb.25:
	ds_load_b32 v6, v7 offset:260
.LBB15_26:
	s_or_b32 exec_lo, exec_lo, s8
	s_waitcnt lgkmcnt(0)
	v_sub_nc_u32_e32 v17, v6, v16
.LBB15_27:
	s_or_b32 exec_lo, exec_lo, s7
	s_waitcnt lgkmcnt(3)
	v_add_nc_u32_e32 v21, v2, v14
	s_waitcnt lgkmcnt(2)
	v_add3_u32 v19, v19, v18, v3
	s_waitcnt lgkmcnt(1)
	v_add3_u32 v18, v23, v22, v4
	;; [unrolled: 2-line block ×3, first 2 shown]
	v_lshlrev_b32_e32 v2, 1, v21
	v_lshlrev_b32_e32 v3, 1, v19
	;; [unrolled: 1-line block ×3, first 2 shown]
	s_delay_alu instid0(VALU_DEP_4)
	v_lshlrev_b32_e32 v5, 1, v14
	s_barrier
	buffer_gl0_inv
	ds_store_b16 v2, v13 offset:2048
	ds_store_b16 v3, v15 offset:2048
	;; [unrolled: 1-line block ×4, first 2 shown]
	s_waitcnt lgkmcnt(0)
	s_barrier
	buffer_gl0_inv
	s_and_saveexec_b32 s7, s5
	s_cbranch_execz .LBB15_37
; %bb.28:
	v_lshl_or_b32 v4, s15, 8, v1
	v_dual_mov_b32 v5, 0 :: v_dual_mov_b32 v8, 0
	s_mov_b32 s8, 0
	s_mov_b32 s9, s15
	s_delay_alu instid0(VALU_DEP_1) | instskip(SKIP_1) | instid1(VALU_DEP_2)
	v_lshlrev_b64 v[2:3], 2, v[4:5]
	v_or_b32_e32 v4, 2.0, v17
	v_add_co_u32 v2, s6, s12, v2
	s_delay_alu instid0(VALU_DEP_1)
	v_add_co_ci_u32_e64 v3, s6, s13, v3, s6
                                        ; implicit-def: $sgpr6
	global_store_b32 v[2:3], v4, off
	s_branch .LBB15_30
	.p2align	6
.LBB15_29:                              ;   in Loop: Header=BB15_30 Depth=1
	s_or_b32 exec_lo, exec_lo, s10
	v_and_b32_e32 v6, 0x3fffffff, v9
	v_cmp_eq_u32_e64 s6, 0x80000000, v4
	s_delay_alu instid0(VALU_DEP_2) | instskip(NEXT) | instid1(VALU_DEP_2)
	v_add_nc_u32_e32 v8, v6, v8
	s_and_b32 s10, exec_lo, s6
	s_delay_alu instid0(SALU_CYCLE_1) | instskip(NEXT) | instid1(SALU_CYCLE_1)
	s_or_b32 s8, s10, s8
	s_and_not1_b32 exec_lo, exec_lo, s8
	s_cbranch_execz .LBB15_36
.LBB15_30:                              ; =>This Loop Header: Depth=1
                                        ;     Child Loop BB15_33 Depth 2
	s_or_b32 s6, s6, exec_lo
	s_cmp_eq_u32 s9, 0
	s_cbranch_scc1 .LBB15_35
; %bb.31:                               ;   in Loop: Header=BB15_30 Depth=1
	s_add_i32 s9, s9, -1
	s_mov_b32 s10, exec_lo
	v_lshl_or_b32 v4, s9, 8, v1
	s_delay_alu instid0(VALU_DEP_1) | instskip(NEXT) | instid1(VALU_DEP_1)
	v_lshlrev_b64 v[6:7], 2, v[4:5]
	v_add_co_u32 v6, s6, s12, v6
	s_delay_alu instid0(VALU_DEP_1) | instskip(SKIP_3) | instid1(VALU_DEP_1)
	v_add_co_ci_u32_e64 v7, s6, s13, v7, s6
	global_load_b32 v9, v[6:7], off glc
	s_waitcnt vmcnt(0)
	v_and_b32_e32 v4, -2.0, v9
	v_cmpx_eq_u32_e32 0, v4
	s_cbranch_execz .LBB15_29
; %bb.32:                               ;   in Loop: Header=BB15_30 Depth=1
	s_mov_b32 s11, 0
.LBB15_33:                              ;   Parent Loop BB15_30 Depth=1
                                        ; =>  This Inner Loop Header: Depth=2
	global_load_b32 v9, v[6:7], off glc
	s_waitcnt vmcnt(0)
	v_and_b32_e32 v4, -2.0, v9
	s_delay_alu instid0(VALU_DEP_1) | instskip(NEXT) | instid1(VALU_DEP_1)
	v_cmp_ne_u32_e64 s6, 0, v4
	s_or_b32 s11, s6, s11
	s_delay_alu instid0(SALU_CYCLE_1)
	s_and_not1_b32 exec_lo, exec_lo, s11
	s_cbranch_execnz .LBB15_33
; %bb.34:                               ;   in Loop: Header=BB15_30 Depth=1
	s_or_b32 exec_lo, exec_lo, s11
	s_branch .LBB15_29
.LBB15_35:                              ;   in Loop: Header=BB15_30 Depth=1
                                        ; implicit-def: $sgpr9
	s_and_b32 s10, exec_lo, s6
	s_delay_alu instid0(SALU_CYCLE_1) | instskip(NEXT) | instid1(SALU_CYCLE_1)
	s_or_b32 s8, s10, s8
	s_and_not1_b32 exec_lo, exec_lo, s8
	s_cbranch_execnz .LBB15_30
.LBB15_36:
	s_or_b32 exec_lo, exec_lo, s8
	v_add_nc_u32_e32 v4, v8, v17
	v_lshlrev_b32_e32 v5, 3, v1
	s_delay_alu instid0(VALU_DEP_2) | instskip(SKIP_3) | instid1(VALU_DEP_1)
	v_or_b32_e32 v4, 0x80000000, v4
	global_store_b32 v[2:3], v4, off
	global_load_b64 v[2:3], v5, s[24:25]
	v_sub_co_u32 v4, s6, v8, v16
	v_sub_co_ci_u32_e64 v6, null, 0, 0, s6
	s_waitcnt vmcnt(0)
	s_delay_alu instid0(VALU_DEP_2) | instskip(NEXT) | instid1(VALU_DEP_1)
	v_add_co_u32 v2, s6, v4, v2
	v_add_co_ci_u32_e64 v3, s6, v6, v3, s6
	ds_store_b64 v5, v[2:3]
.LBB15_37:
	s_or_b32 exec_lo, exec_lo, s7
	v_cmp_gt_u32_e64 s6, s34, v1
	v_lshlrev_b32_e32 v22, 1, v1
	s_waitcnt lgkmcnt(0)
	s_waitcnt_vscnt null, 0x0
	s_barrier
	buffer_gl0_inv
	s_and_saveexec_b32 s8, s6
	s_cbranch_execz .LBB15_39
; %bb.38:
	ds_load_u16 v4, v22 offset:2048
	s_waitcnt lgkmcnt(0)
	v_and_b32_e32 v2, 0xffff, v4
	v_xor_b32_e32 v4, -1, v4
	s_delay_alu instid0(VALU_DEP_2) | instskip(NEXT) | instid1(VALU_DEP_1)
	v_lshrrev_b32_e32 v2, s28, v2
	v_and_b32_e32 v2, s33, v2
	s_delay_alu instid0(VALU_DEP_1) | instskip(SKIP_3) | instid1(VALU_DEP_1)
	v_lshlrev_b32_e32 v2, 3, v2
	ds_load_b64 v[2:3], v2
	s_waitcnt lgkmcnt(0)
	v_lshlrev_b64 v[2:3], 1, v[2:3]
	v_add_co_u32 v2, s7, s18, v2
	s_delay_alu instid0(VALU_DEP_1) | instskip(NEXT) | instid1(VALU_DEP_2)
	v_add_co_ci_u32_e64 v3, s7, s19, v3, s7
	v_add_co_u32 v2, s7, v2, v22
	s_delay_alu instid0(VALU_DEP_1)
	v_add_co_ci_u32_e64 v3, s7, 0, v3, s7
	global_store_b16 v[2:3], v4, off
.LBB15_39:
	s_or_b32 exec_lo, exec_lo, s8
	v_or_b32_e32 v13, 0x400, v1
	s_delay_alu instid0(VALU_DEP_1) | instskip(NEXT) | instid1(VALU_DEP_1)
	v_cmp_gt_u32_e64 s7, s34, v13
	s_and_saveexec_b32 s9, s7
	s_cbranch_execz .LBB15_41
; %bb.40:
	ds_load_u16 v4, v22 offset:4096
	s_waitcnt lgkmcnt(0)
	v_and_b32_e32 v2, 0xffff, v4
	v_xor_b32_e32 v4, -1, v4
	s_delay_alu instid0(VALU_DEP_2) | instskip(NEXT) | instid1(VALU_DEP_1)
	v_lshrrev_b32_e32 v2, s28, v2
	v_and_b32_e32 v2, s33, v2
	s_delay_alu instid0(VALU_DEP_1) | instskip(SKIP_3) | instid1(VALU_DEP_1)
	v_lshlrev_b32_e32 v2, 3, v2
	ds_load_b64 v[2:3], v2
	s_waitcnt lgkmcnt(0)
	v_lshlrev_b64 v[2:3], 1, v[2:3]
	v_add_co_u32 v2, s8, s18, v2
	s_delay_alu instid0(VALU_DEP_1) | instskip(NEXT) | instid1(VALU_DEP_2)
	v_add_co_ci_u32_e64 v3, s8, s19, v3, s8
	v_add_co_u32 v2, s8, v2, v22
	s_delay_alu instid0(VALU_DEP_1)
	v_add_co_ci_u32_e64 v3, s8, 0, v3, s8
	global_store_b16 v[2:3], v4, off offset:2048
.LBB15_41:
	s_or_b32 exec_lo, exec_lo, s9
	v_or_b32_e32 v15, 0x800, v1
	s_delay_alu instid0(VALU_DEP_1) | instskip(NEXT) | instid1(VALU_DEP_1)
	v_cmp_gt_u32_e64 s8, s34, v15
	s_and_saveexec_b32 s10, s8
	s_cbranch_execz .LBB15_43
; %bb.42:
	ds_load_u16 v4, v22 offset:6144
	v_lshlrev_b32_e32 v5, 1, v15
	s_waitcnt lgkmcnt(0)
	v_and_b32_e32 v2, 0xffff, v4
	v_xor_b32_e32 v4, -1, v4
	s_delay_alu instid0(VALU_DEP_2) | instskip(NEXT) | instid1(VALU_DEP_1)
	v_lshrrev_b32_e32 v2, s28, v2
	v_and_b32_e32 v2, s33, v2
	s_delay_alu instid0(VALU_DEP_1) | instskip(SKIP_3) | instid1(VALU_DEP_1)
	v_lshlrev_b32_e32 v2, 3, v2
	ds_load_b64 v[2:3], v2
	s_waitcnt lgkmcnt(0)
	v_lshlrev_b64 v[2:3], 1, v[2:3]
	v_add_co_u32 v2, s9, s18, v2
	s_delay_alu instid0(VALU_DEP_1) | instskip(NEXT) | instid1(VALU_DEP_2)
	v_add_co_ci_u32_e64 v3, s9, s19, v3, s9
	v_add_co_u32 v2, s9, v2, v5
	s_delay_alu instid0(VALU_DEP_1)
	v_add_co_ci_u32_e64 v3, s9, 0, v3, s9
	global_store_b16 v[2:3], v4, off
.LBB15_43:
	s_or_b32 exec_lo, exec_lo, s10
	v_or_b32_e32 v20, 0xc00, v1
	s_delay_alu instid0(VALU_DEP_1) | instskip(NEXT) | instid1(VALU_DEP_1)
	v_cmp_gt_u32_e64 s9, s34, v20
	s_and_saveexec_b32 s11, s9
	s_cbranch_execz .LBB15_45
; %bb.44:
	ds_load_u16 v4, v22 offset:8192
	v_lshlrev_b32_e32 v5, 1, v20
	s_waitcnt lgkmcnt(0)
	v_and_b32_e32 v2, 0xffff, v4
	v_xor_b32_e32 v4, -1, v4
	s_delay_alu instid0(VALU_DEP_2) | instskip(NEXT) | instid1(VALU_DEP_1)
	v_lshrrev_b32_e32 v2, s28, v2
	v_and_b32_e32 v2, s33, v2
	s_delay_alu instid0(VALU_DEP_1) | instskip(SKIP_3) | instid1(VALU_DEP_1)
	v_lshlrev_b32_e32 v2, 3, v2
	ds_load_b64 v[2:3], v2
	s_waitcnt lgkmcnt(0)
	v_lshlrev_b64 v[2:3], 1, v[2:3]
	v_add_co_u32 v2, s10, s18, v2
	s_delay_alu instid0(VALU_DEP_1) | instskip(NEXT) | instid1(VALU_DEP_2)
	v_add_co_ci_u32_e64 v3, s10, s19, v3, s10
	v_add_co_u32 v2, s10, v2, v5
	s_delay_alu instid0(VALU_DEP_1)
	v_add_co_ci_u32_e64 v3, s10, 0, v3, s10
	global_store_b16 v[2:3], v4, off
.LBB15_45:
	s_or_b32 exec_lo, exec_lo, s11
	v_lshlrev_b32_e32 v2, 3, v12
	s_lshl_b64 s[10:11], s[30:31], 3
	v_lshlrev_b32_e32 v3, 3, v10
	s_add_u32 s10, s20, s10
	s_addc_u32 s11, s21, s11
	v_add_co_u32 v2, s10, s10, v2
	s_delay_alu instid0(VALU_DEP_1) | instskip(NEXT) | instid1(VALU_DEP_2)
	v_add_co_ci_u32_e64 v4, null, s11, 0, s10
	v_add_co_u32 v10, s10, v2, v3
	s_delay_alu instid0(VALU_DEP_1) | instskip(SKIP_1) | instid1(SALU_CYCLE_1)
	v_add_co_ci_u32_e64 v11, s10, 0, v4, s10
                                        ; implicit-def: $vgpr2_vgpr3
	s_and_saveexec_b32 s10, vcc_lo
	s_xor_b32 s10, exec_lo, s10
	s_cbranch_execnz .LBB15_103
; %bb.46:
	s_or_b32 exec_lo, exec_lo, s10
                                        ; implicit-def: $vgpr4_vgpr5
	s_and_saveexec_b32 s10, s2
	s_cbranch_execnz .LBB15_104
.LBB15_47:
	s_or_b32 exec_lo, exec_lo, s10
                                        ; implicit-def: $vgpr6_vgpr7
	s_and_saveexec_b32 s2, s3
	s_cbranch_execnz .LBB15_105
.LBB15_48:
	s_or_b32 exec_lo, exec_lo, s2
                                        ; implicit-def: $vgpr8_vgpr9
	s_and_saveexec_b32 s2, s4
	s_cbranch_execz .LBB15_50
.LBB15_49:
	global_load_b64 v[8:9], v[10:11], off offset:768
.LBB15_50:
	s_or_b32 exec_lo, exec_lo, s2
	v_dual_mov_b32 v11, 0 :: v_dual_mov_b32 v24, 0
	s_and_saveexec_b32 s2, s6
	s_cbranch_execz .LBB15_52
; %bb.51:
	ds_load_u16 v10, v22 offset:2048
	s_waitcnt lgkmcnt(0)
	v_lshrrev_b32_e32 v10, s28, v10
	s_delay_alu instid0(VALU_DEP_1)
	v_and_b32_e32 v24, s33, v10
.LBB15_52:
	s_or_b32 exec_lo, exec_lo, s2
	s_and_saveexec_b32 s2, s7
	s_cbranch_execz .LBB15_54
; %bb.53:
	ds_load_u16 v10, v22 offset:4096
	s_waitcnt lgkmcnt(0)
	v_lshrrev_b32_e32 v10, s28, v10
	s_delay_alu instid0(VALU_DEP_1)
	v_and_b32_e32 v11, s33, v10
.LBB15_54:
	s_or_b32 exec_lo, exec_lo, s2
	v_dual_mov_b32 v10, 0 :: v_dual_mov_b32 v23, 0
	s_and_saveexec_b32 s2, s8
	s_cbranch_execz .LBB15_56
; %bb.55:
	ds_load_u16 v23, v22 offset:6144
	s_waitcnt lgkmcnt(0)
	v_lshrrev_b32_e32 v23, s28, v23
	s_delay_alu instid0(VALU_DEP_1)
	v_and_b32_e32 v23, s33, v23
.LBB15_56:
	s_or_b32 exec_lo, exec_lo, s2
	s_and_saveexec_b32 s2, s9
	s_cbranch_execz .LBB15_58
; %bb.57:
	ds_load_u16 v10, v22 offset:8192
	s_waitcnt lgkmcnt(0)
	v_lshrrev_b32_e32 v10, s28, v10
	s_delay_alu instid0(VALU_DEP_1)
	v_and_b32_e32 v10, s33, v10
.LBB15_58:
	s_or_b32 exec_lo, exec_lo, s2
	v_lshlrev_b32_e32 v21, 3, v21
	v_lshlrev_b32_e32 v19, 3, v19
	;; [unrolled: 1-line block ×3, first 2 shown]
	s_waitcnt vmcnt(0)
	s_waitcnt_vscnt null, 0x0
	s_barrier
	buffer_gl0_inv
	v_lshlrev_b32_e32 v14, 3, v14
	ds_store_b64 v21, v[2:3] offset:2048
	ds_store_b64 v19, v[4:5] offset:2048
	;; [unrolled: 1-line block ×3, first 2 shown]
	v_lshlrev_b32_e32 v2, 3, v1
	ds_store_b64 v14, v[8:9] offset:2048
	s_waitcnt lgkmcnt(0)
	s_barrier
	buffer_gl0_inv
	s_and_saveexec_b32 s2, s6
	s_cbranch_execnz .LBB15_106
; %bb.59:
	s_or_b32 exec_lo, exec_lo, s2
	s_and_saveexec_b32 s2, s7
	s_cbranch_execnz .LBB15_107
.LBB15_60:
	s_or_b32 exec_lo, exec_lo, s2
	s_and_saveexec_b32 s2, s8
	s_cbranch_execnz .LBB15_108
.LBB15_61:
	s_or_b32 exec_lo, exec_lo, s2
	s_and_saveexec_b32 s2, s9
	s_cbranch_execz .LBB15_63
.LBB15_62:
	v_lshlrev_b32_e32 v3, 3, v10
	ds_load_b64 v[3:4], v3
	ds_load_b64 v[5:6], v2 offset:26624
	s_waitcnt lgkmcnt(1)
	v_lshlrev_b64 v[2:3], 3, v[3:4]
	v_lshlrev_b32_e32 v4, 3, v20
	s_delay_alu instid0(VALU_DEP_2) | instskip(NEXT) | instid1(VALU_DEP_3)
	v_add_co_u32 v2, vcc_lo, s22, v2
	v_add_co_ci_u32_e32 v3, vcc_lo, s23, v3, vcc_lo
	s_delay_alu instid0(VALU_DEP_2) | instskip(NEXT) | instid1(VALU_DEP_2)
	v_add_co_u32 v2, vcc_lo, v2, v4
	v_add_co_ci_u32_e32 v3, vcc_lo, 0, v3, vcc_lo
	s_waitcnt lgkmcnt(0)
	global_store_b64 v[2:3], v[5:6], off
.LBB15_63:
	s_or_b32 exec_lo, exec_lo, s2
	s_add_i32 s14, s14, -1
	s_mov_b32 s2, 0
	s_cmp_eq_u32 s15, s14
	s_mov_b32 s8, 0
	s_cselect_b32 s3, -1, 0
                                        ; implicit-def: $vgpr5_vgpr6
	s_delay_alu instid0(SALU_CYCLE_1) | instskip(NEXT) | instid1(SALU_CYCLE_1)
	s_and_b32 s3, s5, s3
	s_and_saveexec_b32 s4, s3
	s_delay_alu instid0(SALU_CYCLE_1)
	s_xor_b32 s3, exec_lo, s4
; %bb.64:
	v_add_co_u32 v5, s4, v16, v17
	v_mov_b32_e32 v2, 0
	v_add_co_ci_u32_e64 v6, null, 0, 0, s4
	s_mov_b32 s8, exec_lo
; %bb.65:
	s_or_b32 exec_lo, exec_lo, s3
	s_delay_alu instid0(SALU_CYCLE_1)
	s_and_b32 vcc_lo, exec_lo, s2
	s_cbranch_vccnz .LBB15_67
	s_branch .LBB15_100
.LBB15_66:
	s_mov_b32 s8, 0
                                        ; implicit-def: $vgpr5_vgpr6
	s_cbranch_execz .LBB15_100
.LBB15_67:
	v_lshlrev_b32_e32 v13, 2, v1
	s_lshl_b32 s6, s15, 12
	s_mov_b32 s7, 0
	v_dual_mov_b32 v9, 0 :: v_dual_lshlrev_b32 v2, 1, v12
	s_delay_alu instid0(VALU_DEP_2) | instskip(SKIP_1) | instid1(SALU_CYCLE_1)
	v_and_b32_e32 v11, 0xf80, v13
	s_lshl_b64 s[2:3], s[6:7], 1
	s_add_u32 s2, s16, s2
	s_addc_u32 s3, s17, s3
	s_delay_alu instid0(VALU_DEP_1) | instskip(SKIP_1) | instid1(VALU_DEP_1)
	v_lshlrev_b32_e32 v3, 1, v11
	v_add_co_u32 v2, s2, s2, v2
	v_add_co_ci_u32_e64 v4, null, s3, 0, s2
	s_delay_alu instid0(VALU_DEP_2) | instskip(NEXT) | instid1(VALU_DEP_2)
	v_add_co_u32 v2, vcc_lo, v2, v3
	v_add_co_ci_u32_e32 v3, vcc_lo, 0, v4, vcc_lo
	global_load_u16 v6, v[2:3], off
	s_clause 0x1
	s_load_b32 s2, s[0:1], 0x5c
	s_load_b32 s9, s[0:1], 0x50
	s_add_u32 s0, s0, 0x50
	s_addc_u32 s1, s1, 0
	s_waitcnt lgkmcnt(0)
	s_lshr_b32 s2, s2, 16
	s_cmp_lt_u32 s15, s9
	s_cselect_b32 s3, 12, 18
	s_delay_alu instid0(SALU_CYCLE_1)
	s_add_u32 s0, s0, s3
	s_addc_u32 s1, s1, 0
	global_load_u16 v14, v9, s[0:1]
	s_clause 0x2
	global_load_u16 v5, v[2:3], off offset:64
	global_load_u16 v4, v[2:3], off offset:128
	global_load_u16 v2, v[2:3], off offset:192
	s_lshl_b32 s0, -1, s29
	s_delay_alu instid0(SALU_CYCLE_1) | instskip(SKIP_2) | instid1(VALU_DEP_1)
	s_not_b32 s10, s0
	s_waitcnt vmcnt(4)
	v_xor_b32_e32 v10, -1, v6
	v_and_b32_e32 v3, 0xffff, v10
	s_delay_alu instid0(VALU_DEP_1) | instskip(NEXT) | instid1(VALU_DEP_1)
	v_lshrrev_b32_e32 v3, s28, v3
	v_and_b32_e32 v16, s10, v3
	v_bfe_u32 v3, v0, 10, 10
	v_bfe_u32 v0, v0, 20, 10
	s_delay_alu instid0(VALU_DEP_3)
	v_and_b32_e32 v6, 1, v16
	v_lshlrev_b32_e32 v7, 30, v16
	v_lshlrev_b32_e32 v8, 29, v16
	;; [unrolled: 1-line block ×4, first 2 shown]
	v_add_co_u32 v6, s0, v6, -1
	s_delay_alu instid0(VALU_DEP_1)
	v_cndmask_b32_e64 v17, 0, 1, s0
	v_not_b32_e32 v21, v7
	v_cmp_gt_i32_e64 s0, 0, v7
	v_not_b32_e32 v7, v8
	v_lshlrev_b32_e32 v19, 26, v16
	v_cmp_ne_u32_e32 vcc_lo, 0, v17
	v_ashrrev_i32_e32 v21, 31, v21
	v_lshlrev_b32_e32 v20, 25, v16
	v_ashrrev_i32_e32 v7, 31, v7
	v_lshlrev_b32_e32 v17, 24, v16
	v_xor_b32_e32 v6, vcc_lo, v6
	v_cmp_gt_i32_e32 vcc_lo, 0, v8
	v_not_b32_e32 v8, v15
	v_xor_b32_e32 v21, s0, v21
	v_cmp_gt_i32_e64 s0, 0, v15
	v_and_b32_e32 v6, exec_lo, v6
	v_not_b32_e32 v15, v18
	v_ashrrev_i32_e32 v8, 31, v8
	v_xor_b32_e32 v7, vcc_lo, v7
	v_cmp_gt_i32_e32 vcc_lo, 0, v18
	v_and_b32_e32 v6, v6, v21
	v_not_b32_e32 v18, v19
	v_ashrrev_i32_e32 v15, 31, v15
	v_xor_b32_e32 v8, s0, v8
	v_cmp_gt_i32_e64 s0, 0, v19
	v_and_b32_e32 v6, v6, v7
	v_not_b32_e32 v7, v20
	v_ashrrev_i32_e32 v18, 31, v18
	v_xor_b32_e32 v15, vcc_lo, v15
	v_cmp_gt_i32_e32 vcc_lo, 0, v20
	v_and_b32_e32 v6, v6, v8
	v_not_b32_e32 v8, v17
	v_ashrrev_i32_e32 v7, 31, v7
	v_xor_b32_e32 v18, s0, v18
	v_cmp_gt_i32_e64 s0, 0, v17
	v_and_b32_e32 v6, v6, v15
	v_ashrrev_i32_e32 v8, 31, v8
	v_xor_b32_e32 v7, vcc_lo, v7
	v_mad_u32_u24 v0, v0, s2, v3
	v_mul_u32_u24_e32 v15, 9, v1
	v_and_b32_e32 v6, v6, v18
	v_xor_b32_e32 v3, s0, v8
	s_delay_alu instid0(VALU_DEP_3) | instskip(NEXT) | instid1(VALU_DEP_3)
	v_lshlrev_b32_e32 v15, 2, v15
	v_and_b32_e32 v6, v6, v7
	s_waitcnt vmcnt(0)
	v_mad_u64_u32 v[7:8], null, v0, v14, v[1:2]
	ds_store_2addr_b32 v15, v9, v9 offset0:32 offset1:33
	ds_store_2addr_b32 v15, v9, v9 offset0:34 offset1:35
	;; [unrolled: 1-line block ×4, first 2 shown]
	v_and_b32_e32 v6, v6, v3
	ds_store_b32 v15, v9 offset:160
	s_waitcnt lgkmcnt(0)
	s_waitcnt_vscnt null, 0x0
	s_barrier
	v_lshrrev_b32_e32 v3, 5, v7
	v_mbcnt_lo_u32_b32 v0, v6, 0
	v_mul_u32_u24_e32 v7, 33, v16
	v_cmp_ne_u32_e64 s0, 0, v6
	buffer_gl0_inv
	v_cmp_eq_u32_e32 vcc_lo, 0, v0
	v_add_lshl_u32 v16, v3, v7, 2
	; wave barrier
	s_and_b32 s1, s0, vcc_lo
	s_delay_alu instid0(SALU_CYCLE_1)
	s_and_saveexec_b32 s0, s1
	s_cbranch_execz .LBB15_69
; %bb.68:
	v_bcnt_u32_b32 v6, v6, 0
	ds_store_b32 v16, v6 offset:128
.LBB15_69:
	s_or_b32 exec_lo, exec_lo, s0
	v_xor_b32_e32 v14, -1, v5
	; wave barrier
	s_delay_alu instid0(VALU_DEP_1) | instskip(NEXT) | instid1(VALU_DEP_1)
	v_and_b32_e32 v5, 0xffff, v14
	v_lshrrev_b32_e32 v5, s28, v5
	s_delay_alu instid0(VALU_DEP_1) | instskip(NEXT) | instid1(VALU_DEP_1)
	v_and_b32_e32 v5, s10, v5
	v_and_b32_e32 v6, 1, v5
	v_lshlrev_b32_e32 v7, 30, v5
	v_lshlrev_b32_e32 v8, 29, v5
	;; [unrolled: 1-line block ×4, first 2 shown]
	v_add_co_u32 v6, s0, v6, -1
	s_delay_alu instid0(VALU_DEP_1)
	v_cndmask_b32_e64 v17, 0, 1, s0
	v_not_b32_e32 v21, v7
	v_cmp_gt_i32_e64 s0, 0, v7
	v_not_b32_e32 v7, v8
	v_lshlrev_b32_e32 v19, 26, v5
	v_cmp_ne_u32_e32 vcc_lo, 0, v17
	v_ashrrev_i32_e32 v21, 31, v21
	v_lshlrev_b32_e32 v20, 25, v5
	v_ashrrev_i32_e32 v7, 31, v7
	v_lshlrev_b32_e32 v17, 24, v5
	v_xor_b32_e32 v6, vcc_lo, v6
	v_cmp_gt_i32_e32 vcc_lo, 0, v8
	v_not_b32_e32 v8, v9
	v_xor_b32_e32 v21, s0, v21
	v_cmp_gt_i32_e64 s0, 0, v9
	v_and_b32_e32 v6, exec_lo, v6
	v_not_b32_e32 v9, v18
	v_ashrrev_i32_e32 v8, 31, v8
	v_xor_b32_e32 v7, vcc_lo, v7
	v_cmp_gt_i32_e32 vcc_lo, 0, v18
	v_and_b32_e32 v6, v6, v21
	v_not_b32_e32 v18, v19
	v_ashrrev_i32_e32 v9, 31, v9
	v_xor_b32_e32 v8, s0, v8
	v_cmp_gt_i32_e64 s0, 0, v19
	v_and_b32_e32 v6, v6, v7
	v_not_b32_e32 v7, v20
	v_ashrrev_i32_e32 v18, 31, v18
	v_xor_b32_e32 v9, vcc_lo, v9
	v_cmp_gt_i32_e32 vcc_lo, 0, v20
	v_and_b32_e32 v6, v6, v8
	v_not_b32_e32 v8, v17
	v_ashrrev_i32_e32 v7, 31, v7
	v_xor_b32_e32 v18, s0, v18
	v_mul_u32_u24_e32 v5, 33, v5
	v_and_b32_e32 v6, v6, v9
	v_cmp_gt_i32_e64 s0, 0, v17
	v_ashrrev_i32_e32 v8, 31, v8
	v_xor_b32_e32 v7, vcc_lo, v7
	v_add_lshl_u32 v20, v3, v5, 2
	v_and_b32_e32 v6, v6, v18
	s_delay_alu instid0(VALU_DEP_4) | instskip(SKIP_2) | instid1(VALU_DEP_1)
	v_xor_b32_e32 v5, s0, v8
	ds_load_b32 v17, v20 offset:128
	v_and_b32_e32 v6, v6, v7
	; wave barrier
	v_and_b32_e32 v5, v6, v5
	s_delay_alu instid0(VALU_DEP_1) | instskip(SKIP_1) | instid1(VALU_DEP_2)
	v_mbcnt_lo_u32_b32 v18, v5, 0
	v_cmp_ne_u32_e64 s0, 0, v5
	v_cmp_eq_u32_e32 vcc_lo, 0, v18
	s_delay_alu instid0(VALU_DEP_2) | instskip(NEXT) | instid1(SALU_CYCLE_1)
	s_and_b32 s1, s0, vcc_lo
	s_and_saveexec_b32 s0, s1
	s_cbranch_execz .LBB15_71
; %bb.70:
	s_waitcnt lgkmcnt(0)
	v_bcnt_u32_b32 v5, v5, v17
	ds_store_b32 v20, v5 offset:128
.LBB15_71:
	s_or_b32 exec_lo, exec_lo, s0
	v_xor_b32_e32 v19, -1, v4
	; wave barrier
	s_delay_alu instid0(VALU_DEP_1) | instskip(NEXT) | instid1(VALU_DEP_1)
	v_and_b32_e32 v4, 0xffff, v19
	v_lshrrev_b32_e32 v4, s28, v4
	s_delay_alu instid0(VALU_DEP_1) | instskip(NEXT) | instid1(VALU_DEP_1)
	v_and_b32_e32 v4, s10, v4
	v_and_b32_e32 v5, 1, v4
	v_lshlrev_b32_e32 v6, 30, v4
	v_lshlrev_b32_e32 v7, 29, v4
	;; [unrolled: 1-line block ×4, first 2 shown]
	v_add_co_u32 v5, s0, v5, -1
	s_delay_alu instid0(VALU_DEP_1)
	v_cndmask_b32_e64 v9, 0, 1, s0
	v_not_b32_e32 v24, v6
	v_cmp_gt_i32_e64 s0, 0, v6
	v_not_b32_e32 v6, v7
	v_lshlrev_b32_e32 v22, 26, v4
	v_cmp_ne_u32_e32 vcc_lo, 0, v9
	v_ashrrev_i32_e32 v24, 31, v24
	v_lshlrev_b32_e32 v23, 25, v4
	v_ashrrev_i32_e32 v6, 31, v6
	v_lshlrev_b32_e32 v9, 24, v4
	v_xor_b32_e32 v5, vcc_lo, v5
	v_cmp_gt_i32_e32 vcc_lo, 0, v7
	v_not_b32_e32 v7, v8
	v_xor_b32_e32 v24, s0, v24
	v_cmp_gt_i32_e64 s0, 0, v8
	v_and_b32_e32 v5, exec_lo, v5
	v_not_b32_e32 v8, v21
	v_ashrrev_i32_e32 v7, 31, v7
	v_xor_b32_e32 v6, vcc_lo, v6
	v_cmp_gt_i32_e32 vcc_lo, 0, v21
	v_and_b32_e32 v5, v5, v24
	v_not_b32_e32 v21, v22
	v_ashrrev_i32_e32 v8, 31, v8
	v_xor_b32_e32 v7, s0, v7
	v_cmp_gt_i32_e64 s0, 0, v22
	v_and_b32_e32 v5, v5, v6
	v_not_b32_e32 v6, v23
	v_ashrrev_i32_e32 v21, 31, v21
	v_xor_b32_e32 v8, vcc_lo, v8
	v_cmp_gt_i32_e32 vcc_lo, 0, v23
	v_and_b32_e32 v5, v5, v7
	v_not_b32_e32 v7, v9
	v_ashrrev_i32_e32 v6, 31, v6
	v_xor_b32_e32 v21, s0, v21
	v_mul_u32_u24_e32 v4, 33, v4
	v_and_b32_e32 v5, v5, v8
	v_cmp_gt_i32_e64 s0, 0, v9
	v_ashrrev_i32_e32 v7, 31, v7
	v_xor_b32_e32 v6, vcc_lo, v6
	v_add_lshl_u32 v24, v3, v4, 2
	v_and_b32_e32 v5, v5, v21
	s_delay_alu instid0(VALU_DEP_4) | instskip(SKIP_2) | instid1(VALU_DEP_1)
	v_xor_b32_e32 v4, s0, v7
	ds_load_b32 v21, v24 offset:128
	v_and_b32_e32 v5, v5, v6
	; wave barrier
	v_and_b32_e32 v4, v5, v4
	s_delay_alu instid0(VALU_DEP_1) | instskip(SKIP_1) | instid1(VALU_DEP_2)
	v_mbcnt_lo_u32_b32 v22, v4, 0
	v_cmp_ne_u32_e64 s0, 0, v4
	v_cmp_eq_u32_e32 vcc_lo, 0, v22
	s_delay_alu instid0(VALU_DEP_2) | instskip(NEXT) | instid1(SALU_CYCLE_1)
	s_and_b32 s1, s0, vcc_lo
	s_and_saveexec_b32 s0, s1
	s_cbranch_execz .LBB15_73
; %bb.72:
	s_waitcnt lgkmcnt(0)
	v_bcnt_u32_b32 v4, v4, v21
	ds_store_b32 v24, v4 offset:128
.LBB15_73:
	s_or_b32 exec_lo, exec_lo, s0
	v_xor_b32_e32 v23, -1, v2
	; wave barrier
	v_add_nc_u32_e32 v28, 0x80, v15
	s_delay_alu instid0(VALU_DEP_2) | instskip(NEXT) | instid1(VALU_DEP_1)
	v_and_b32_e32 v2, 0xffff, v23
	v_lshrrev_b32_e32 v2, s28, v2
	s_delay_alu instid0(VALU_DEP_1) | instskip(NEXT) | instid1(VALU_DEP_1)
	v_and_b32_e32 v2, s10, v2
	v_and_b32_e32 v4, 1, v2
	v_lshlrev_b32_e32 v5, 30, v2
	v_lshlrev_b32_e32 v6, 29, v2
	;; [unrolled: 1-line block ×4, first 2 shown]
	v_add_co_u32 v4, s0, v4, -1
	s_delay_alu instid0(VALU_DEP_1)
	v_cndmask_b32_e64 v8, 0, 1, s0
	v_not_b32_e32 v27, v5
	v_cmp_gt_i32_e64 s0, 0, v5
	v_not_b32_e32 v5, v6
	v_lshlrev_b32_e32 v25, 26, v2
	v_cmp_ne_u32_e32 vcc_lo, 0, v8
	v_ashrrev_i32_e32 v27, 31, v27
	v_lshlrev_b32_e32 v26, 25, v2
	v_ashrrev_i32_e32 v5, 31, v5
	v_lshlrev_b32_e32 v8, 24, v2
	v_xor_b32_e32 v4, vcc_lo, v4
	v_cmp_gt_i32_e32 vcc_lo, 0, v6
	v_not_b32_e32 v6, v7
	v_xor_b32_e32 v27, s0, v27
	v_cmp_gt_i32_e64 s0, 0, v7
	v_and_b32_e32 v4, exec_lo, v4
	v_not_b32_e32 v7, v9
	v_ashrrev_i32_e32 v6, 31, v6
	v_xor_b32_e32 v5, vcc_lo, v5
	v_cmp_gt_i32_e32 vcc_lo, 0, v9
	v_and_b32_e32 v4, v4, v27
	v_not_b32_e32 v9, v25
	v_ashrrev_i32_e32 v7, 31, v7
	v_xor_b32_e32 v6, s0, v6
	v_cmp_gt_i32_e64 s0, 0, v25
	v_and_b32_e32 v4, v4, v5
	v_not_b32_e32 v5, v26
	v_ashrrev_i32_e32 v9, 31, v9
	v_xor_b32_e32 v7, vcc_lo, v7
	v_cmp_gt_i32_e32 vcc_lo, 0, v26
	v_and_b32_e32 v4, v4, v6
	v_not_b32_e32 v6, v8
	v_ashrrev_i32_e32 v5, 31, v5
	v_xor_b32_e32 v9, s0, v9
	v_mul_u32_u24_e32 v2, 33, v2
	v_and_b32_e32 v4, v4, v7
	v_cmp_gt_i32_e64 s0, 0, v8
	v_ashrrev_i32_e32 v6, 31, v6
	v_xor_b32_e32 v5, vcc_lo, v5
	v_add_lshl_u32 v27, v3, v2, 2
	v_and_b32_e32 v4, v4, v9
	s_delay_alu instid0(VALU_DEP_4) | instskip(SKIP_2) | instid1(VALU_DEP_1)
	v_xor_b32_e32 v2, s0, v6
	ds_load_b32 v25, v27 offset:128
	v_and_b32_e32 v3, v4, v5
	; wave barrier
	v_and_b32_e32 v2, v3, v2
	s_delay_alu instid0(VALU_DEP_1) | instskip(SKIP_1) | instid1(VALU_DEP_2)
	v_mbcnt_lo_u32_b32 v26, v2, 0
	v_cmp_ne_u32_e64 s0, 0, v2
	v_cmp_eq_u32_e32 vcc_lo, 0, v26
	s_delay_alu instid0(VALU_DEP_2) | instskip(NEXT) | instid1(SALU_CYCLE_1)
	s_and_b32 s1, s0, vcc_lo
	s_and_saveexec_b32 s0, s1
	s_cbranch_execz .LBB15_75
; %bb.74:
	s_waitcnt lgkmcnt(0)
	v_bcnt_u32_b32 v2, v2, v25
	ds_store_b32 v27, v2 offset:128
.LBB15_75:
	s_or_b32 exec_lo, exec_lo, s0
	; wave barrier
	s_waitcnt lgkmcnt(0)
	s_barrier
	buffer_gl0_inv
	ds_load_2addr_b32 v[8:9], v15 offset0:32 offset1:33
	ds_load_2addr_b32 v[6:7], v28 offset0:2 offset1:3
	;; [unrolled: 1-line block ×4, first 2 shown]
	ds_load_b32 v29, v28 offset:32
	v_and_b32_e32 v32, 16, v12
	v_and_b32_e32 v33, 31, v1
	s_mov_b32 s5, exec_lo
	s_delay_alu instid0(VALU_DEP_2) | instskip(SKIP_3) | instid1(VALU_DEP_1)
	v_cmp_eq_u32_e64 s3, 0, v32
	s_waitcnt lgkmcnt(3)
	v_add3_u32 v30, v9, v8, v6
	s_waitcnt lgkmcnt(2)
	v_add3_u32 v30, v30, v7, v4
	s_waitcnt lgkmcnt(1)
	s_delay_alu instid0(VALU_DEP_1) | instskip(SKIP_1) | instid1(VALU_DEP_1)
	v_add3_u32 v30, v30, v5, v2
	s_waitcnt lgkmcnt(0)
	v_add3_u32 v29, v30, v3, v29
	v_and_b32_e32 v30, 15, v12
	s_delay_alu instid0(VALU_DEP_2) | instskip(NEXT) | instid1(VALU_DEP_2)
	v_mov_b32_dpp v31, v29 row_shr:1 row_mask:0xf bank_mask:0xf
	v_cmp_eq_u32_e32 vcc_lo, 0, v30
	v_cmp_lt_u32_e64 s0, 1, v30
	v_cmp_lt_u32_e64 s1, 3, v30
	;; [unrolled: 1-line block ×3, first 2 shown]
	v_cndmask_b32_e64 v31, v31, 0, vcc_lo
	s_delay_alu instid0(VALU_DEP_1) | instskip(NEXT) | instid1(VALU_DEP_1)
	v_add_nc_u32_e32 v29, v31, v29
	v_mov_b32_dpp v31, v29 row_shr:2 row_mask:0xf bank_mask:0xf
	s_delay_alu instid0(VALU_DEP_1) | instskip(NEXT) | instid1(VALU_DEP_1)
	v_cndmask_b32_e64 v31, 0, v31, s0
	v_add_nc_u32_e32 v29, v29, v31
	s_delay_alu instid0(VALU_DEP_1) | instskip(NEXT) | instid1(VALU_DEP_1)
	v_mov_b32_dpp v31, v29 row_shr:4 row_mask:0xf bank_mask:0xf
	v_cndmask_b32_e64 v31, 0, v31, s1
	s_delay_alu instid0(VALU_DEP_1) | instskip(NEXT) | instid1(VALU_DEP_1)
	v_add_nc_u32_e32 v29, v29, v31
	v_mov_b32_dpp v31, v29 row_shr:8 row_mask:0xf bank_mask:0xf
	s_delay_alu instid0(VALU_DEP_1) | instskip(SKIP_1) | instid1(VALU_DEP_2)
	v_cndmask_b32_e64 v30, 0, v31, s2
	v_bfe_i32 v31, v12, 4, 1
	v_add_nc_u32_e32 v29, v29, v30
	ds_swizzle_b32 v30, v29 offset:swizzle(BROADCAST,32,15)
	s_waitcnt lgkmcnt(0)
	v_and_b32_e32 v31, v31, v30
	v_lshrrev_b32_e32 v30, 5, v1
	s_delay_alu instid0(VALU_DEP_2)
	v_add_nc_u32_e32 v29, v29, v31
	v_cmpx_eq_u32_e32 31, v33
	s_cbranch_execz .LBB15_77
; %bb.76:
	s_delay_alu instid0(VALU_DEP_3)
	v_lshlrev_b32_e32 v31, 2, v30
	ds_store_b32 v31, v29
.LBB15_77:
	s_or_b32 exec_lo, exec_lo, s5
	v_cmp_lt_u32_e64 s4, 31, v1
	s_mov_b32 s11, exec_lo
	s_waitcnt lgkmcnt(0)
	s_barrier
	buffer_gl0_inv
	v_cmpx_gt_u32_e32 32, v1
	s_cbranch_execz .LBB15_79
; %bb.78:
	ds_load_b32 v31, v13
	s_waitcnt lgkmcnt(0)
	v_mov_b32_dpp v32, v31 row_shr:1 row_mask:0xf bank_mask:0xf
	s_delay_alu instid0(VALU_DEP_1) | instskip(NEXT) | instid1(VALU_DEP_1)
	v_cndmask_b32_e64 v32, v32, 0, vcc_lo
	v_add_nc_u32_e32 v31, v32, v31
	s_delay_alu instid0(VALU_DEP_1) | instskip(NEXT) | instid1(VALU_DEP_1)
	v_mov_b32_dpp v32, v31 row_shr:2 row_mask:0xf bank_mask:0xf
	v_cndmask_b32_e64 v32, 0, v32, s0
	s_delay_alu instid0(VALU_DEP_1) | instskip(NEXT) | instid1(VALU_DEP_1)
	v_add_nc_u32_e32 v31, v31, v32
	v_mov_b32_dpp v32, v31 row_shr:4 row_mask:0xf bank_mask:0xf
	s_delay_alu instid0(VALU_DEP_1) | instskip(NEXT) | instid1(VALU_DEP_1)
	v_cndmask_b32_e64 v32, 0, v32, s1
	v_add_nc_u32_e32 v31, v31, v32
	s_delay_alu instid0(VALU_DEP_1) | instskip(NEXT) | instid1(VALU_DEP_1)
	v_mov_b32_dpp v32, v31 row_shr:8 row_mask:0xf bank_mask:0xf
	v_cndmask_b32_e64 v32, 0, v32, s2
	s_delay_alu instid0(VALU_DEP_1) | instskip(SKIP_3) | instid1(VALU_DEP_1)
	v_add_nc_u32_e32 v31, v31, v32
	ds_swizzle_b32 v32, v31 offset:swizzle(BROADCAST,32,15)
	s_waitcnt lgkmcnt(0)
	v_cndmask_b32_e64 v32, v32, 0, s3
	v_add_nc_u32_e32 v31, v31, v32
	ds_store_b32 v13, v31
.LBB15_79:
	s_or_b32 exec_lo, exec_lo, s11
	v_mov_b32_e32 v13, 0
	s_waitcnt lgkmcnt(0)
	s_barrier
	buffer_gl0_inv
	s_and_saveexec_b32 s0, s4
	s_cbranch_execz .LBB15_81
; %bb.80:
	v_lshl_add_u32 v13, v30, 2, -4
	ds_load_b32 v13, v13
.LBB15_81:
	s_or_b32 exec_lo, exec_lo, s0
	v_add_nc_u32_e32 v30, -1, v12
	v_cmp_lt_u32_e64 s0, 0xff, v1
	s_waitcnt lgkmcnt(0)
	v_add_nc_u32_e32 v29, v13, v29
	s_delay_alu instid0(VALU_DEP_3) | instskip(SKIP_2) | instid1(VALU_DEP_2)
	v_cmp_gt_i32_e32 vcc_lo, 0, v30
	v_cndmask_b32_e32 v30, v30, v12, vcc_lo
	v_cmp_eq_u32_e32 vcc_lo, 0, v12
	v_lshlrev_b32_e32 v30, 2, v30
	ds_bpermute_b32 v29, v30, v29
	s_waitcnt lgkmcnt(0)
	v_cndmask_b32_e32 v13, v29, v13, vcc_lo
	v_cmp_ne_u32_e32 vcc_lo, 0, v1
	s_delay_alu instid0(VALU_DEP_2) | instskip(SKIP_1) | instid1(VALU_DEP_2)
	v_cndmask_b32_e32 v13, 0, v13, vcc_lo
	v_cmp_gt_u32_e32 vcc_lo, 0x100, v1
	v_add_nc_u32_e32 v8, v13, v8
	s_delay_alu instid0(VALU_DEP_1) | instskip(NEXT) | instid1(VALU_DEP_1)
	v_add_nc_u32_e32 v9, v8, v9
	v_add_nc_u32_e32 v6, v9, v6
	s_delay_alu instid0(VALU_DEP_1) | instskip(NEXT) | instid1(VALU_DEP_1)
	v_add_nc_u32_e32 v7, v6, v7
	;; [unrolled: 3-line block ×3, first 2 shown]
	v_add_nc_u32_e32 v2, v5, v2
	s_delay_alu instid0(VALU_DEP_1)
	v_add_nc_u32_e32 v3, v2, v3
	ds_store_2addr_b32 v15, v13, v8 offset0:32 offset1:33
	ds_store_2addr_b32 v28, v9, v6 offset0:2 offset1:3
	;; [unrolled: 1-line block ×4, first 2 shown]
	ds_store_b32 v28, v3 offset:32
	s_waitcnt lgkmcnt(0)
	s_barrier
	buffer_gl0_inv
	ds_load_b32 v2, v16 offset:128
	ds_load_b32 v5, v20 offset:128
	;; [unrolled: 1-line block ×4, first 2 shown]
	v_mov_b32_e32 v3, 0
	v_mov_b32_e32 v4, 0
                                        ; implicit-def: $vgpr13
	s_and_saveexec_b32 s2, vcc_lo
	s_cbranch_execz .LBB15_85
; %bb.82:
	v_mul_u32_u24_e32 v3, 33, v1
	v_mov_b32_e32 v4, 0x1000
	s_mov_b32 s3, exec_lo
	s_delay_alu instid0(VALU_DEP_2)
	v_lshlrev_b32_e32 v8, 2, v3
	ds_load_b32 v3, v8 offset:128
	v_cmpx_ne_u32_e32 0xff, v1
	s_cbranch_execz .LBB15_84
; %bb.83:
	ds_load_b32 v4, v8 offset:260
.LBB15_84:
	s_or_b32 exec_lo, exec_lo, s3
	s_waitcnt lgkmcnt(0)
	v_sub_nc_u32_e32 v13, v4, v3
	v_mov_b32_e32 v4, 0
.LBB15_85:
	s_or_b32 exec_lo, exec_lo, s2
	s_waitcnt lgkmcnt(3)
	v_add_nc_u32_e32 v20, v2, v0
	s_waitcnt lgkmcnt(2)
	v_add3_u32 v16, v18, v17, v5
	s_waitcnt lgkmcnt(1)
	v_add3_u32 v15, v22, v21, v6
	;; [unrolled: 2-line block ×3, first 2 shown]
	v_lshlrev_b32_e32 v2, 1, v20
	v_lshlrev_b32_e32 v5, 1, v16
	;; [unrolled: 1-line block ×3, first 2 shown]
	s_delay_alu instid0(VALU_DEP_4)
	v_lshlrev_b32_e32 v7, 1, v0
	s_barrier
	buffer_gl0_inv
	ds_store_b16 v2, v10 offset:2048
	ds_store_b16 v5, v14 offset:2048
	;; [unrolled: 1-line block ×4, first 2 shown]
	s_waitcnt lgkmcnt(0)
	s_barrier
	buffer_gl0_inv
	s_and_saveexec_b32 s1, s0
	s_delay_alu instid0(SALU_CYCLE_1)
	s_xor_b32 s0, exec_lo, s1
; %bb.86:
	v_mov_b32_e32 v2, 0
; %bb.87:
	s_and_not1_saveexec_b32 s1, s0
	s_cbranch_execz .LBB15_97
; %bb.88:
	v_lshl_or_b32 v7, s15, 8, v1
	v_mov_b32_e32 v8, 0
	v_mov_b32_e32 v2, 0
	s_mov_b32 s2, 0
	s_mov_b32 s3, s15
	s_delay_alu instid0(VALU_DEP_2) | instskip(SKIP_1) | instid1(VALU_DEP_2)
	v_lshlrev_b64 v[5:6], 2, v[7:8]
	v_or_b32_e32 v7, 2.0, v13
	v_add_co_u32 v5, s0, s12, v5
	s_delay_alu instid0(VALU_DEP_1)
	v_add_co_ci_u32_e64 v6, s0, s13, v6, s0
                                        ; implicit-def: $sgpr0
	global_store_b32 v[5:6], v7, off
	s_branch .LBB15_91
	.p2align	6
.LBB15_89:                              ;   in Loop: Header=BB15_91 Depth=1
	s_or_b32 exec_lo, exec_lo, s5
.LBB15_90:                              ;   in Loop: Header=BB15_91 Depth=1
	s_delay_alu instid0(SALU_CYCLE_1) | instskip(SKIP_2) | instid1(VALU_DEP_2)
	s_or_b32 exec_lo, exec_lo, s4
	v_and_b32_e32 v9, 0x3fffffff, v14
	v_cmp_eq_u32_e64 s0, 0x80000000, v7
	v_add_nc_u32_e32 v2, v9, v2
	s_delay_alu instid0(VALU_DEP_2) | instskip(NEXT) | instid1(SALU_CYCLE_1)
	s_and_b32 s4, exec_lo, s0
	s_or_b32 s2, s4, s2
	s_delay_alu instid0(SALU_CYCLE_1)
	s_and_not1_b32 exec_lo, exec_lo, s2
	s_cbranch_execz .LBB15_96
.LBB15_91:                              ; =>This Loop Header: Depth=1
                                        ;     Child Loop BB15_94 Depth 2
	s_or_b32 s0, s0, exec_lo
	s_cmp_eq_u32 s3, 0
	s_cbranch_scc1 .LBB15_95
; %bb.92:                               ;   in Loop: Header=BB15_91 Depth=1
	s_add_i32 s3, s3, -1
	s_mov_b32 s4, exec_lo
	v_lshl_or_b32 v7, s3, 8, v1
	s_delay_alu instid0(VALU_DEP_1) | instskip(NEXT) | instid1(VALU_DEP_1)
	v_lshlrev_b64 v[9:10], 2, v[7:8]
	v_add_co_u32 v9, s0, s12, v9
	s_delay_alu instid0(VALU_DEP_1) | instskip(SKIP_3) | instid1(VALU_DEP_1)
	v_add_co_ci_u32_e64 v10, s0, s13, v10, s0
	global_load_b32 v14, v[9:10], off glc
	s_waitcnt vmcnt(0)
	v_and_b32_e32 v7, -2.0, v14
	v_cmpx_eq_u32_e32 0, v7
	s_cbranch_execz .LBB15_90
; %bb.93:                               ;   in Loop: Header=BB15_91 Depth=1
	s_mov_b32 s5, 0
.LBB15_94:                              ;   Parent Loop BB15_91 Depth=1
                                        ; =>  This Inner Loop Header: Depth=2
	global_load_b32 v14, v[9:10], off glc
	s_waitcnt vmcnt(0)
	v_and_b32_e32 v7, -2.0, v14
	s_delay_alu instid0(VALU_DEP_1) | instskip(NEXT) | instid1(VALU_DEP_1)
	v_cmp_ne_u32_e64 s0, 0, v7
	s_or_b32 s5, s0, s5
	s_delay_alu instid0(SALU_CYCLE_1)
	s_and_not1_b32 exec_lo, exec_lo, s5
	s_cbranch_execnz .LBB15_94
	s_branch .LBB15_89
.LBB15_95:                              ;   in Loop: Header=BB15_91 Depth=1
                                        ; implicit-def: $sgpr3
	s_and_b32 s4, exec_lo, s0
	s_delay_alu instid0(SALU_CYCLE_1) | instskip(NEXT) | instid1(SALU_CYCLE_1)
	s_or_b32 s2, s4, s2
	s_and_not1_b32 exec_lo, exec_lo, s2
	s_cbranch_execnz .LBB15_91
.LBB15_96:
	s_or_b32 exec_lo, exec_lo, s2
	v_add_nc_u32_e32 v7, v2, v13
	v_lshlrev_b32_e32 v8, 3, v1
	v_sub_co_u32 v2, s0, v2, v3
	s_delay_alu instid0(VALU_DEP_3)
	v_or_b32_e32 v7, 0x80000000, v7
	global_store_b32 v[5:6], v7, off
	global_load_b64 v[5:6], v8, s[24:25]
	v_sub_co_ci_u32_e64 v7, s0, 0, v4, s0
	s_waitcnt vmcnt(0)
	v_add_co_u32 v5, s0, v2, v5
	v_mov_b32_e32 v2, 0
	s_delay_alu instid0(VALU_DEP_3)
	v_add_co_ci_u32_e64 v6, s0, v7, v6, s0
	ds_store_b64 v8, v[5:6]
.LBB15_97:
	s_or_b32 exec_lo, exec_lo, s1
	v_lshlrev_b32_e32 v5, 3, v12
	s_lshl_b64 s[0:1], s[6:7], 3
	v_lshlrev_b32_e32 v6, 3, v11
	s_add_u32 s0, s20, s0
	s_addc_u32 s1, s21, s1
	v_add_co_u32 v5, s0, s0, v5
	s_delay_alu instid0(VALU_DEP_1) | instskip(SKIP_2) | instid1(VALU_DEP_2)
	v_add_co_ci_u32_e64 v7, null, s1, 0, s0
	s_waitcnt lgkmcnt(0)
	s_waitcnt_vscnt null, 0x0
	v_add_co_u32 v5, s0, v5, v6
	s_delay_alu instid0(VALU_DEP_1)
	v_add_co_ci_u32_e64 v6, s0, 0, v7, s0
	s_barrier
	buffer_gl0_inv
	v_lshlrev_b32_e32 v27, 1, v1
	s_clause 0x3
	global_load_b64 v[7:8], v[5:6], off
	global_load_b64 v[9:10], v[5:6], off offset:256
	global_load_b64 v[11:12], v[5:6], off offset:512
	;; [unrolled: 1-line block ×3, first 2 shown]
	v_lshlrev_b32_e32 v29, 1, v1
	v_lshlrev_b32_e32 v40, 3, v15
	;; [unrolled: 1-line block ×3, first 2 shown]
	ds_load_u16 v28, v27 offset:8192
	ds_load_u16 v19, v29 offset:2048
	;; [unrolled: 1-line block ×3, first 2 shown]
	v_lshlrev_b32_e32 v39, 3, v16
	v_lshlrev_b64 v[25:26], 1, v[1:2]
	v_or_b32_e32 v35, 0x800, v1
	v_or_b32_e32 v36, 0xc00, v1
	v_lshlrev_b32_e32 v0, 3, v0
	s_add_i32 s9, s9, -1
	s_delay_alu instid0(VALU_DEP_3) | instskip(NEXT) | instid1(VALU_DEP_3)
	v_lshlrev_b32_e32 v41, 1, v35
	v_lshlrev_b32_e32 v42, 1, v36
	s_cmp_eq_u32 s15, s9
	s_cselect_b32 s1, -1, 0
	s_delay_alu instid0(SALU_CYCLE_1)
	s_and_b32 s1, vcc_lo, s1
	s_waitcnt lgkmcnt(2)
	v_and_b32_e32 v14, 0xffff, v28
	s_waitcnt lgkmcnt(1)
	v_xor_b32_e32 v43, -1, v19
	s_waitcnt lgkmcnt(0)
	v_and_b32_e32 v21, 0xffff, v30
	v_xor_b32_e32 v30, -1, v30
	v_xor_b32_e32 v28, -1, v28
	v_lshrrev_b32_e32 v14, s28, v14
	s_delay_alu instid0(VALU_DEP_4) | instskip(NEXT) | instid1(VALU_DEP_2)
	v_lshrrev_b32_e32 v21, s28, v21
	v_and_b32_e32 v14, s10, v14
	s_delay_alu instid0(VALU_DEP_2) | instskip(NEXT) | instid1(VALU_DEP_2)
	v_and_b32_e32 v21, s10, v21
	v_lshlrev_b32_e32 v31, 3, v14
	ds_load_b64 v[17:18], v31
	ds_load_u16 v32, v27 offset:6144
	v_and_b32_e32 v14, 0xffff, v19
	v_lshlrev_b32_e32 v34, 3, v21
	s_delay_alu instid0(VALU_DEP_2) | instskip(NEXT) | instid1(VALU_DEP_1)
	v_lshrrev_b32_e32 v14, s28, v14
	v_and_b32_e32 v14, s10, v14
	s_delay_alu instid0(VALU_DEP_1)
	v_lshlrev_b32_e32 v33, 3, v14
	ds_load_b64 v[21:22], v33
	ds_load_b64 v[23:24], v34
	s_waitcnt lgkmcnt(2)
	v_and_b32_e32 v14, 0xffff, v32
	v_lshlrev_b64 v[16:17], 1, v[17:18]
	s_delay_alu instid0(VALU_DEP_2) | instskip(NEXT) | instid1(VALU_DEP_1)
	v_lshrrev_b32_e32 v14, s28, v14
	v_and_b32_e32 v14, s10, v14
	s_delay_alu instid0(VALU_DEP_1)
	v_lshlrev_b32_e32 v38, 3, v14
	s_waitcnt lgkmcnt(1)
	v_lshlrev_b64 v[19:20], 1, v[21:22]
	s_waitcnt lgkmcnt(0)
	v_lshlrev_b64 v[21:22], 1, v[23:24]
	ds_load_b64 v[14:15], v38
	v_xor_b32_e32 v23, -1, v32
	v_add_co_u32 v18, s0, s18, v19
	s_delay_alu instid0(VALU_DEP_1) | instskip(SKIP_1) | instid1(VALU_DEP_1)
	v_add_co_ci_u32_e64 v19, s0, s19, v20, s0
	v_add_co_u32 v20, s0, s18, v21
	v_add_co_ci_u32_e64 v21, s0, s19, v22, s0
	v_add_co_u32 v22, s0, s18, v16
	s_delay_alu instid0(VALU_DEP_1) | instskip(SKIP_1) | instid1(VALU_DEP_1)
	v_add_co_ci_u32_e64 v24, s0, s19, v17, s0
	v_add_co_u32 v16, s0, v18, v25
	v_add_co_ci_u32_e64 v17, s0, v19, v26, s0
	s_waitcnt lgkmcnt(0)
	v_lshlrev_b64 v[14:15], 1, v[14:15]
	s_delay_alu instid0(VALU_DEP_1) | instskip(NEXT) | instid1(VALU_DEP_1)
	v_add_co_u32 v18, s0, s18, v14
	v_add_co_ci_u32_e64 v19, s0, s19, v15, s0
	v_add_co_u32 v14, s0, v20, v25
	s_delay_alu instid0(VALU_DEP_1) | instskip(NEXT) | instid1(VALU_DEP_4)
	v_add_co_ci_u32_e64 v15, s0, v21, v26, s0
	v_add_co_u32 v18, s0, v18, v41
	s_delay_alu instid0(VALU_DEP_1) | instskip(SKIP_1) | instid1(VALU_DEP_1)
	v_add_co_ci_u32_e64 v19, s0, 0, v19, s0
	v_add_co_u32 v20, s0, v22, v42
	v_add_co_ci_u32_e64 v21, s0, 0, v24, s0
	s_clause 0x3
	global_store_b16 v[16:17], v43, off
	global_store_b16 v[14:15], v30, off offset:2048
	global_store_b16 v[18:19], v23, off
	global_store_b16 v[20:21], v28, off
	s_waitcnt vmcnt(0)
	s_waitcnt_vscnt null, 0x0
	s_barrier
	buffer_gl0_inv
	v_mad_i32_i24 v20, v1, 6, v29
	v_lshlrev_b64 v[18:19], 3, v[1:2]
	v_lshl_or_b32 v24, v1, 3, 0x2000
	v_lshlrev_b32_e32 v25, 3, v35
	v_lshlrev_b32_e32 v26, 3, v36
	ds_store_b64 v37, v[7:8] offset:2048
	ds_store_b64 v39, v[9:10] offset:2048
	;; [unrolled: 1-line block ×4, first 2 shown]
	s_waitcnt lgkmcnt(0)
	s_barrier
	buffer_gl0_inv
	ds_load_b64 v[9:10], v33
	ds_load_b64 v[11:12], v34
	ds_load_b64 v[14:15], v38
	ds_load_b64 v[16:17], v31
	v_or_b32_e32 v0, 0x800, v27
	s_delay_alu instid0(VALU_DEP_1)
	v_mad_u32_u24 v0, v1, 6, v0
	ds_load_2addr_stride64_b64 v[5:8], v0 offset0:16 offset1:32
	ds_load_b64 v[20:21], v20 offset:2048
	ds_load_b64 v[22:23], v0 offset:24576
	s_waitcnt lgkmcnt(6)
	v_lshlrev_b64 v[9:10], 3, v[9:10]
	s_waitcnt lgkmcnt(5)
	v_lshlrev_b64 v[11:12], 3, v[11:12]
	;; [unrolled: 2-line block ×4, first 2 shown]
	v_add_co_u32 v0, s0, s22, v9
	s_delay_alu instid0(VALU_DEP_1) | instskip(SKIP_1) | instid1(VALU_DEP_1)
	v_add_co_ci_u32_e64 v10, s0, s23, v10, s0
	v_add_co_u32 v11, s0, s22, v11
	v_add_co_ci_u32_e64 v12, s0, s23, v12, s0
	v_add_co_u32 v14, s0, s22, v14
	s_delay_alu instid0(VALU_DEP_1) | instskip(SKIP_1) | instid1(VALU_DEP_1)
	v_add_co_ci_u32_e64 v15, s0, s23, v15, s0
	v_add_co_u32 v16, s0, s22, v16
	v_add_co_ci_u32_e64 v17, s0, s23, v17, s0
	;; [unrolled: 5-line block ×4, first 2 shown]
	s_waitcnt lgkmcnt(1)
	s_clause 0x2
	global_store_b64 v[9:10], v[20:21], off
	global_store_b64 v[11:12], v[5:6], off
	;; [unrolled: 1-line block ×3, first 2 shown]
	s_waitcnt lgkmcnt(0)
	global_store_b64 v[16:17], v[22:23], off
                                        ; implicit-def: $vgpr5_vgpr6
	s_and_saveexec_b32 s0, s1
; %bb.98:
	v_add_co_u32 v5, vcc_lo, v3, v13
	v_add_co_ci_u32_e32 v6, vcc_lo, 0, v4, vcc_lo
	s_or_b32 s8, s8, exec_lo
; %bb.99:
	s_or_b32 exec_lo, exec_lo, s0
.LBB15_100:
	s_and_saveexec_b32 s0, s8
	s_cbranch_execnz .LBB15_102
; %bb.101:
	s_nop 0
	s_sendmsg sendmsg(MSG_DEALLOC_VGPRS)
	s_endpgm
.LBB15_102:
	v_lshlrev_b32_e32 v0, 3, v1
	ds_load_b64 v[3:4], v0
	v_lshlrev_b64 v[0:1], 3, v[1:2]
	s_delay_alu instid0(VALU_DEP_1) | instskip(NEXT) | instid1(VALU_DEP_2)
	v_add_co_u32 v0, vcc_lo, s26, v0
	v_add_co_ci_u32_e32 v1, vcc_lo, s27, v1, vcc_lo
	s_waitcnt lgkmcnt(0)
	v_add_co_u32 v2, vcc_lo, v3, v5
	v_add_co_ci_u32_e32 v3, vcc_lo, v4, v6, vcc_lo
	global_store_b64 v[0:1], v[2:3], off
	s_nop 0
	s_sendmsg sendmsg(MSG_DEALLOC_VGPRS)
	s_endpgm
.LBB15_103:
	global_load_b64 v[2:3], v[10:11], off
	s_or_b32 exec_lo, exec_lo, s10
                                        ; implicit-def: $vgpr4_vgpr5
	s_and_saveexec_b32 s10, s2
	s_cbranch_execz .LBB15_47
.LBB15_104:
	global_load_b64 v[4:5], v[10:11], off offset:256
	s_or_b32 exec_lo, exec_lo, s10
                                        ; implicit-def: $vgpr6_vgpr7
	s_and_saveexec_b32 s2, s3
	s_cbranch_execz .LBB15_48
.LBB15_105:
	global_load_b64 v[6:7], v[10:11], off offset:512
	s_or_b32 exec_lo, exec_lo, s2
                                        ; implicit-def: $vgpr8_vgpr9
	s_and_saveexec_b32 s2, s4
	s_cbranch_execnz .LBB15_49
	s_branch .LBB15_50
.LBB15_106:
	v_lshlrev_b32_e32 v3, 3, v24
	ds_load_b64 v[3:4], v3
	ds_load_b64 v[5:6], v2 offset:2048
	s_waitcnt lgkmcnt(1)
	v_lshlrev_b64 v[3:4], 3, v[3:4]
	s_delay_alu instid0(VALU_DEP_1) | instskip(NEXT) | instid1(VALU_DEP_2)
	v_add_co_u32 v3, vcc_lo, s22, v3
	v_add_co_ci_u32_e32 v4, vcc_lo, s23, v4, vcc_lo
	s_delay_alu instid0(VALU_DEP_2) | instskip(NEXT) | instid1(VALU_DEP_2)
	v_add_co_u32 v3, vcc_lo, v3, v2
	v_add_co_ci_u32_e32 v4, vcc_lo, 0, v4, vcc_lo
	s_waitcnt lgkmcnt(0)
	global_store_b64 v[3:4], v[5:6], off
	s_or_b32 exec_lo, exec_lo, s2
	s_and_saveexec_b32 s2, s7
	s_cbranch_execz .LBB15_60
.LBB15_107:
	v_lshlrev_b32_e32 v3, 3, v11
	v_lshlrev_b32_e32 v7, 3, v13
	ds_load_b64 v[3:4], v3
	ds_load_b64 v[5:6], v2 offset:10240
	s_waitcnt lgkmcnt(1)
	v_lshlrev_b64 v[3:4], 3, v[3:4]
	s_delay_alu instid0(VALU_DEP_1) | instskip(NEXT) | instid1(VALU_DEP_2)
	v_add_co_u32 v3, vcc_lo, s22, v3
	v_add_co_ci_u32_e32 v4, vcc_lo, s23, v4, vcc_lo
	s_delay_alu instid0(VALU_DEP_2) | instskip(NEXT) | instid1(VALU_DEP_2)
	v_add_co_u32 v3, vcc_lo, v3, v7
	v_add_co_ci_u32_e32 v4, vcc_lo, 0, v4, vcc_lo
	s_waitcnt lgkmcnt(0)
	global_store_b64 v[3:4], v[5:6], off
	s_or_b32 exec_lo, exec_lo, s2
	s_and_saveexec_b32 s2, s8
	s_cbranch_execz .LBB15_61
.LBB15_108:
	v_lshlrev_b32_e32 v3, 3, v23
	v_lshlrev_b32_e32 v7, 3, v15
	ds_load_b64 v[3:4], v3
	ds_load_b64 v[5:6], v2 offset:18432
	s_waitcnt lgkmcnt(1)
	v_lshlrev_b64 v[3:4], 3, v[3:4]
	s_delay_alu instid0(VALU_DEP_1) | instskip(NEXT) | instid1(VALU_DEP_2)
	v_add_co_u32 v3, vcc_lo, s22, v3
	v_add_co_ci_u32_e32 v4, vcc_lo, s23, v4, vcc_lo
	s_delay_alu instid0(VALU_DEP_2) | instskip(NEXT) | instid1(VALU_DEP_2)
	v_add_co_u32 v3, vcc_lo, v3, v7
	v_add_co_ci_u32_e32 v4, vcc_lo, 0, v4, vcc_lo
	s_waitcnt lgkmcnt(0)
	global_store_b64 v[3:4], v[5:6], off
	s_or_b32 exec_lo, exec_lo, s2
	s_and_saveexec_b32 s2, s9
	s_cbranch_execnz .LBB15_62
	s_branch .LBB15_63
	.section	.rodata,"a",@progbits
	.p2align	6, 0x0
	.amdhsa_kernel _ZN7rocprim17ROCPRIM_304000_NS6detail25onesweep_iteration_kernelINS1_34wrapped_radix_sort_onesweep_configINS0_14default_configEtN2at4cuda3cub6detail10OpaqueTypeILi8EEEEELb1EPtSC_PSA_SD_mNS0_19identity_decomposerEEEvT1_T2_T3_T4_jPT5_SK_PNS1_23onesweep_lookback_stateET6_jjj
		.amdhsa_group_segment_fixed_size 36992
		.amdhsa_private_segment_fixed_size 0
		.amdhsa_kernarg_size 336
		.amdhsa_user_sgpr_count 15
		.amdhsa_user_sgpr_dispatch_ptr 0
		.amdhsa_user_sgpr_queue_ptr 0
		.amdhsa_user_sgpr_kernarg_segment_ptr 1
		.amdhsa_user_sgpr_dispatch_id 0
		.amdhsa_user_sgpr_private_segment_size 0
		.amdhsa_wavefront_size32 1
		.amdhsa_uses_dynamic_stack 0
		.amdhsa_enable_private_segment 0
		.amdhsa_system_sgpr_workgroup_id_x 1
		.amdhsa_system_sgpr_workgroup_id_y 0
		.amdhsa_system_sgpr_workgroup_id_z 0
		.amdhsa_system_sgpr_workgroup_info 0
		.amdhsa_system_vgpr_workitem_id 2
		.amdhsa_next_free_vgpr 44
		.amdhsa_next_free_sgpr 36
		.amdhsa_reserve_vcc 1
		.amdhsa_float_round_mode_32 0
		.amdhsa_float_round_mode_16_64 0
		.amdhsa_float_denorm_mode_32 3
		.amdhsa_float_denorm_mode_16_64 3
		.amdhsa_dx10_clamp 1
		.amdhsa_ieee_mode 1
		.amdhsa_fp16_overflow 0
		.amdhsa_workgroup_processor_mode 1
		.amdhsa_memory_ordered 1
		.amdhsa_forward_progress 0
		.amdhsa_shared_vgpr_count 0
		.amdhsa_exception_fp_ieee_invalid_op 0
		.amdhsa_exception_fp_denorm_src 0
		.amdhsa_exception_fp_ieee_div_zero 0
		.amdhsa_exception_fp_ieee_overflow 0
		.amdhsa_exception_fp_ieee_underflow 0
		.amdhsa_exception_fp_ieee_inexact 0
		.amdhsa_exception_int_div_zero 0
	.end_amdhsa_kernel
	.section	.text._ZN7rocprim17ROCPRIM_304000_NS6detail25onesweep_iteration_kernelINS1_34wrapped_radix_sort_onesweep_configINS0_14default_configEtN2at4cuda3cub6detail10OpaqueTypeILi8EEEEELb1EPtSC_PSA_SD_mNS0_19identity_decomposerEEEvT1_T2_T3_T4_jPT5_SK_PNS1_23onesweep_lookback_stateET6_jjj,"axG",@progbits,_ZN7rocprim17ROCPRIM_304000_NS6detail25onesweep_iteration_kernelINS1_34wrapped_radix_sort_onesweep_configINS0_14default_configEtN2at4cuda3cub6detail10OpaqueTypeILi8EEEEELb1EPtSC_PSA_SD_mNS0_19identity_decomposerEEEvT1_T2_T3_T4_jPT5_SK_PNS1_23onesweep_lookback_stateET6_jjj,comdat
.Lfunc_end15:
	.size	_ZN7rocprim17ROCPRIM_304000_NS6detail25onesweep_iteration_kernelINS1_34wrapped_radix_sort_onesweep_configINS0_14default_configEtN2at4cuda3cub6detail10OpaqueTypeILi8EEEEELb1EPtSC_PSA_SD_mNS0_19identity_decomposerEEEvT1_T2_T3_T4_jPT5_SK_PNS1_23onesweep_lookback_stateET6_jjj, .Lfunc_end15-_ZN7rocprim17ROCPRIM_304000_NS6detail25onesweep_iteration_kernelINS1_34wrapped_radix_sort_onesweep_configINS0_14default_configEtN2at4cuda3cub6detail10OpaqueTypeILi8EEEEELb1EPtSC_PSA_SD_mNS0_19identity_decomposerEEEvT1_T2_T3_T4_jPT5_SK_PNS1_23onesweep_lookback_stateET6_jjj
                                        ; -- End function
	.section	.AMDGPU.csdata,"",@progbits
; Kernel info:
; codeLenInByte = 9076
; NumSgprs: 38
; NumVgprs: 44
; ScratchSize: 0
; MemoryBound: 0
; FloatMode: 240
; IeeeMode: 1
; LDSByteSize: 36992 bytes/workgroup (compile time only)
; SGPRBlocks: 4
; VGPRBlocks: 5
; NumSGPRsForWavesPerEU: 38
; NumVGPRsForWavesPerEU: 44
; Occupancy: 16
; WaveLimiterHint : 1
; COMPUTE_PGM_RSRC2:SCRATCH_EN: 0
; COMPUTE_PGM_RSRC2:USER_SGPR: 15
; COMPUTE_PGM_RSRC2:TRAP_HANDLER: 0
; COMPUTE_PGM_RSRC2:TGID_X_EN: 1
; COMPUTE_PGM_RSRC2:TGID_Y_EN: 0
; COMPUTE_PGM_RSRC2:TGID_Z_EN: 0
; COMPUTE_PGM_RSRC2:TIDIG_COMP_CNT: 2
	.section	.text._ZN7rocprim17ROCPRIM_304000_NS6detail28radix_sort_block_sort_kernelINS1_36wrapped_radix_sort_block_sort_configINS0_13kernel_configILj256ELj4ELj4294967295EEEtN2at4cuda3cub6detail10OpaqueTypeILi8EEEEELb0EPKtPtPKSB_PSB_NS0_19identity_decomposerEEEvT1_T2_T3_T4_jT5_jj,"axG",@progbits,_ZN7rocprim17ROCPRIM_304000_NS6detail28radix_sort_block_sort_kernelINS1_36wrapped_radix_sort_block_sort_configINS0_13kernel_configILj256ELj4ELj4294967295EEEtN2at4cuda3cub6detail10OpaqueTypeILi8EEEEELb0EPKtPtPKSB_PSB_NS0_19identity_decomposerEEEvT1_T2_T3_T4_jT5_jj,comdat
	.protected	_ZN7rocprim17ROCPRIM_304000_NS6detail28radix_sort_block_sort_kernelINS1_36wrapped_radix_sort_block_sort_configINS0_13kernel_configILj256ELj4ELj4294967295EEEtN2at4cuda3cub6detail10OpaqueTypeILi8EEEEELb0EPKtPtPKSB_PSB_NS0_19identity_decomposerEEEvT1_T2_T3_T4_jT5_jj ; -- Begin function _ZN7rocprim17ROCPRIM_304000_NS6detail28radix_sort_block_sort_kernelINS1_36wrapped_radix_sort_block_sort_configINS0_13kernel_configILj256ELj4ELj4294967295EEEtN2at4cuda3cub6detail10OpaqueTypeILi8EEEEELb0EPKtPtPKSB_PSB_NS0_19identity_decomposerEEEvT1_T2_T3_T4_jT5_jj
	.globl	_ZN7rocprim17ROCPRIM_304000_NS6detail28radix_sort_block_sort_kernelINS1_36wrapped_radix_sort_block_sort_configINS0_13kernel_configILj256ELj4ELj4294967295EEEtN2at4cuda3cub6detail10OpaqueTypeILi8EEEEELb0EPKtPtPKSB_PSB_NS0_19identity_decomposerEEEvT1_T2_T3_T4_jT5_jj
	.p2align	8
	.type	_ZN7rocprim17ROCPRIM_304000_NS6detail28radix_sort_block_sort_kernelINS1_36wrapped_radix_sort_block_sort_configINS0_13kernel_configILj256ELj4ELj4294967295EEEtN2at4cuda3cub6detail10OpaqueTypeILi8EEEEELb0EPKtPtPKSB_PSB_NS0_19identity_decomposerEEEvT1_T2_T3_T4_jT5_jj,@function
_ZN7rocprim17ROCPRIM_304000_NS6detail28radix_sort_block_sort_kernelINS1_36wrapped_radix_sort_block_sort_configINS0_13kernel_configILj256ELj4ELj4294967295EEEtN2at4cuda3cub6detail10OpaqueTypeILi8EEEEELb0EPKtPtPKSB_PSB_NS0_19identity_decomposerEEEvT1_T2_T3_T4_jT5_jj: ; @_ZN7rocprim17ROCPRIM_304000_NS6detail28radix_sort_block_sort_kernelINS1_36wrapped_radix_sort_block_sort_configINS0_13kernel_configILj256ELj4ELj4294967295EEEtN2at4cuda3cub6detail10OpaqueTypeILi8EEEEELb0EPKtPtPKSB_PSB_NS0_19identity_decomposerEEEvT1_T2_T3_T4_jT5_jj
; %bb.0:
	s_clause 0x1
	s_load_b32 s2, s[0:1], 0x20
	s_load_b256 s[16:23], s[0:1], 0x0
	v_and_b32_e32 v8, 0x3ff, v0
	v_mbcnt_lo_u32_b32 v7, -1, 0
	s_lshl_b32 s24, s15, 10
	s_mov_b32 s25, 0
	s_delay_alu instid0(VALU_DEP_2) | instskip(NEXT) | instid1(VALU_DEP_2)
	v_lshlrev_b32_e32 v1, 2, v8
	v_lshlrev_b32_e32 v2, 1, v7
	;; [unrolled: 1-line block ×3, first 2 shown]
	s_delay_alu instid0(VALU_DEP_3) | instskip(NEXT) | instid1(VALU_DEP_1)
	v_and_b32_e32 v11, 0x380, v1
	v_lshlrev_b32_e32 v1, 1, v11
	v_lshlrev_b32_e32 v16, 3, v11
	v_add_nc_u32_e32 v13, v7, v11
	s_waitcnt lgkmcnt(0)
	s_lshr_b32 s3, s2, 10
	s_delay_alu instid0(SALU_CYCLE_1) | instskip(SKIP_2) | instid1(SALU_CYCLE_1)
	s_cmp_lg_u32 s15, s3
	s_cselect_b32 s28, -1, 0
	s_lshl_b64 s[26:27], s[24:25], 1
	s_add_u32 s4, s16, s26
	s_addc_u32 s5, s17, s27
	v_add_co_u32 v2, s4, s4, v2
	s_delay_alu instid0(VALU_DEP_1) | instskip(SKIP_1) | instid1(VALU_DEP_2)
	v_add_co_ci_u32_e64 v3, null, s5, 0, s4
	s_cmp_eq_u32 s15, s3
	v_add_co_u32 v9, vcc_lo, v2, v1
	s_delay_alu instid0(VALU_DEP_2)
	v_add_co_ci_u32_e32 v10, vcc_lo, 0, v3, vcc_lo
	s_mov_b32 s3, -1
	s_cbranch_scc1 .LBB16_2
; %bb.1:
	s_clause 0x1
	global_load_u16 v1, v[9:10], off
	global_load_u16 v2, v[9:10], off offset:128
	s_lshl_b64 s[4:5], s[24:25], 3
	s_delay_alu instid0(SALU_CYCLE_1) | instskip(SKIP_2) | instid1(VALU_DEP_1)
	s_add_u32 s3, s20, s4
	s_addc_u32 s4, s21, s5
	v_add_co_u32 v3, s3, s3, v15
	v_add_co_ci_u32_e64 v4, null, s4, 0, s3
	s_mov_b32 s3, s25
	s_delay_alu instid0(VALU_DEP_2) | instskip(NEXT) | instid1(VALU_DEP_2)
	v_add_co_u32 v17, vcc_lo, v3, v16
	v_add_co_ci_u32_e32 v18, vcc_lo, 0, v4, vcc_lo
	s_clause 0x1
	global_load_d16_hi_b16 v1, v[9:10], off offset:64
	global_load_d16_hi_b16 v2, v[9:10], off offset:192
	s_clause 0x3
	global_load_b64 v[3:4], v[17:18], off
	global_load_b64 v[5:6], v[17:18], off offset:256
	global_load_b64 v[23:24], v[17:18], off offset:512
	global_load_b64 v[25:26], v[17:18], off offset:768
	v_add_nc_u32_e32 v17, v7, v11
	s_delay_alu instid0(VALU_DEP_1)
	v_add_nc_u32_e32 v11, 32, v17
	v_add_nc_u32_e32 v12, 64, v17
	;; [unrolled: 1-line block ×3, first 2 shown]
	s_and_not1_b32 vcc_lo, exec_lo, s3
	s_sub_i32 s16, s2, s24
	s_cbranch_vccz .LBB16_3
	s_branch .LBB16_17
.LBB16_2:
                                        ; implicit-def: $vgpr1_vgpr2
                                        ; implicit-def: $vgpr3_vgpr4
                                        ; implicit-def: $vgpr5_vgpr6
                                        ; implicit-def: $vgpr23_vgpr24
                                        ; implicit-def: $vgpr25_vgpr26
                                        ; implicit-def: $vgpr17
                                        ; implicit-def: $vgpr11
                                        ; implicit-def: $vgpr12
                                        ; implicit-def: $vgpr14
	s_and_not1_b32 vcc_lo, exec_lo, s3
	s_sub_i32 s16, s2, s24
	s_cbranch_vccnz .LBB16_17
.LBB16_3:
	s_mov_b32 s2, -1
	v_cmp_gt_u32_e32 vcc_lo, s16, v13
	s_mov_b32 s3, s2
	s_waitcnt vmcnt(4)
	v_dual_mov_b32 v1, s2 :: v_dual_mov_b32 v2, s3
	s_and_saveexec_b32 s2, vcc_lo
	s_cbranch_execz .LBB16_5
; %bb.4:
	v_dual_mov_b32 v1, 0xffff0000 :: v_dual_mov_b32 v2, -1
	global_load_d16_b16 v1, v[9:10], off
.LBB16_5:
	s_or_b32 exec_lo, exec_lo, s2
	v_add_nc_u32_e32 v11, 32, v13
	s_delay_alu instid0(VALU_DEP_1) | instskip(NEXT) | instid1(VALU_DEP_1)
	v_cmp_gt_u32_e64 s2, s16, v11
	s_and_saveexec_b32 s3, s2
	s_cbranch_execz .LBB16_7
; %bb.6:
	global_load_d16_hi_b16 v1, v[9:10], off offset:64
.LBB16_7:
	s_or_b32 exec_lo, exec_lo, s3
	v_add_nc_u32_e32 v12, 64, v13
	s_delay_alu instid0(VALU_DEP_1) | instskip(NEXT) | instid1(VALU_DEP_1)
	v_cmp_gt_u32_e64 s3, s16, v12
	s_and_saveexec_b32 s4, s3
	s_cbranch_execz .LBB16_9
; %bb.8:
	global_load_d16_b16 v2, v[9:10], off offset:128
.LBB16_9:
	s_or_b32 exec_lo, exec_lo, s4
	v_add_nc_u32_e32 v14, 0x60, v13
	s_delay_alu instid0(VALU_DEP_1) | instskip(NEXT) | instid1(VALU_DEP_1)
	v_cmp_gt_u32_e64 s4, s16, v14
	s_and_saveexec_b32 s5, s4
	s_cbranch_execz .LBB16_11
; %bb.10:
	global_load_d16_hi_b16 v2, v[9:10], off offset:192
.LBB16_11:
	s_or_b32 exec_lo, exec_lo, s5
	s_lshl_b64 s[6:7], s[24:25], 3
	s_delay_alu instid0(SALU_CYCLE_1) | instskip(SKIP_3) | instid1(VALU_DEP_1)
	s_add_u32 s5, s20, s6
	s_addc_u32 s6, s21, s7
	s_waitcnt vmcnt(3)
	v_add_co_u32 v3, s5, s5, v15
	v_add_co_ci_u32_e64 v4, null, s6, 0, s5
	s_delay_alu instid0(VALU_DEP_2) | instskip(NEXT) | instid1(VALU_DEP_1)
	v_add_co_u32 v9, s5, v3, v16
	v_add_co_ci_u32_e64 v10, s5, 0, v4, s5
                                        ; implicit-def: $vgpr3_vgpr4
	s_and_saveexec_b32 s5, vcc_lo
	s_cbranch_execnz .LBB16_54
; %bb.12:
	s_or_b32 exec_lo, exec_lo, s5
                                        ; implicit-def: $vgpr5_vgpr6
	s_and_saveexec_b32 s5, s2
	s_cbranch_execnz .LBB16_55
.LBB16_13:
	s_or_b32 exec_lo, exec_lo, s5
                                        ; implicit-def: $vgpr23_vgpr24
	s_and_saveexec_b32 s2, s3
	s_cbranch_execnz .LBB16_56
.LBB16_14:
	s_or_b32 exec_lo, exec_lo, s2
                                        ; implicit-def: $vgpr25_vgpr26
	s_and_saveexec_b32 s2, s4
	s_cbranch_execz .LBB16_16
.LBB16_15:
	global_load_b64 v[25:26], v[9:10], off offset:768
.LBB16_16:
	s_or_b32 exec_lo, exec_lo, s2
	v_mov_b32_e32 v17, v13
.LBB16_17:
	s_clause 0x1
	s_load_b32 s7, s[0:1], 0x3c
	s_load_b64 s[14:15], s[0:1], 0x28
	v_bfe_u32 v9, v0, 10, 10
	v_bfe_u32 v0, v0, 20, 10
	s_mov_b32 s20, 0
	v_cmp_eq_u32_e64 s2, 0, v7
	s_mov_b32 s30, s20
	s_mov_b32 s31, s20
	v_and_b32_e32 v10, 0x3e0, v8
	s_mov_b32 s21, s20
	v_add_nc_u32_e32 v16, -1, v7
	v_and_b32_e32 v13, 15, v7
	v_and_b32_e32 v15, 16, v7
	v_min_u32_e32 v21, 0xe0, v10
	v_and_b32_e32 v20, 7, v7
	v_lshrrev_b32_e32 v18, 3, v8
	v_lshlrev_b32_e32 v38, 1, v14
	v_mul_lo_u32 v14, v14, 6
	v_mul_i32_i24_e32 v19, 0xffffffe4, v8
	v_lshlrev_b32_e32 v35, 1, v17
	s_waitcnt lgkmcnt(0)
	s_lshr_b32 s6, s7, 16
	s_and_b32 s7, s7, 0xffff
	v_mad_u32_u24 v0, v0, s6, v9
	v_and_b32_e32 v31, 0x7c, v18
	v_lshlrev_b32_e32 v36, 1, v11
	v_lshlrev_b32_e32 v37, 1, v12
	v_cmp_gt_u32_e64 s0, 8, v8
	v_mad_u64_u32 v[9:10], null, v0, s7, v[8:9]
	v_cmp_lt_u32_e64 s1, 31, v8
	v_cmp_eq_u32_e64 s3, 0, v8
	v_cmp_eq_u32_e64 s10, 0, v20
	v_cmp_lt_u32_e64 s11, 1, v20
	v_cmp_lt_u32_e64 s12, 3, v20
	v_add_nc_u32_e32 v34, -4, v31
	v_lshrrev_b32_e32 v33, 5, v9
	v_mov_b32_e32 v9, s20
	v_cmp_gt_i32_e32 vcc_lo, 0, v16
	v_dual_mov_b32 v10, s21 :: v_dual_lshlrev_b32 v29, 5, v8
	v_cmp_eq_u32_e64 s4, 0, v13
	v_cmp_lt_u32_e64 s5, 1, v13
	v_cndmask_b32_e32 v0, v16, v7, vcc_lo
	v_or_b32_e32 v7, 31, v21
	v_cmp_lt_u32_e64 s6, 3, v13
	v_cmp_lt_u32_e64 s7, 7, v13
	v_mul_lo_u32 v13, v12, 6
	v_lshlrev_b32_e32 v32, 2, v0
	v_cmp_eq_u32_e64 s9, v7, v8
	v_mul_lo_u32 v0, v17, 6
	v_mul_lo_u32 v7, v11, 6
	v_dual_mov_b32 v11, s30 :: v_dual_add_nc_u32 v30, 32, v29
	v_mov_b32_e32 v12, s31
	v_cmp_eq_u32_e64 s8, 0, v15
	v_add_nc_u32_e32 v39, v29, v19
	v_add_nc_u32_e32 v42, v37, v13
	;; [unrolled: 1-line block ×5, first 2 shown]
	s_add_i32 s17, s15, s14
	s_branch .LBB16_19
.LBB16_18:                              ;   in Loop: Header=BB16_19 Depth=1
	s_barrier
	buffer_gl0_inv
	ds_store_b16 v28, v13
	ds_store_b16 v27, v44
	;; [unrolled: 1-line block ×4, first 2 shown]
	s_waitcnt lgkmcnt(0)
	s_barrier
	buffer_gl0_inv
	ds_load_u16 v1, v35
	ds_load_u16 v2, v37
	v_mad_u64_u32 v[3:4], null, v50, 6, v[28:29]
	v_mad_u64_u32 v[4:5], null, v49, 6, v[27:28]
	;; [unrolled: 1-line block ×3, first 2 shown]
	s_add_i32 s15, s15, -8
	s_waitcnt lgkmcnt(1)
	v_mad_u64_u32 v[23:24], null, v46, 6, v[0:1]
	ds_load_u16_d16_hi v1, v36
	s_waitcnt lgkmcnt(1)
	ds_load_u16_d16_hi v2, v38
	s_waitcnt lgkmcnt(0)
	s_barrier
	buffer_gl0_inv
	ds_store_b64 v3, v[21:22]
	ds_store_b64 v4, v[19:20]
	ds_store_b64 v5, v[17:18]
	ds_store_b64 v23, v[15:16]
	s_waitcnt lgkmcnt(0)
	s_barrier
	buffer_gl0_inv
	ds_load_b64 v[3:4], v40
	ds_load_b64 v[5:6], v41
	;; [unrolled: 1-line block ×4, first 2 shown]
	s_waitcnt lgkmcnt(0)
	s_barrier
	buffer_gl0_inv
	s_cbranch_execz .LBB16_35
.LBB16_19:                              ; =>This Inner Loop Header: Depth=1
	s_waitcnt vmcnt(0)
	v_dual_mov_b32 v14, v2 :: v_dual_mov_b32 v13, v1
	s_min_u32 s13, s15, 8
	v_mov_b32_e32 v22, v4
	s_lshl_b32 s13, -1, s13
	s_delay_alu instid0(VALU_DEP_2)
	v_dual_mov_b32 v21, v3 :: v_dual_and_b32 v0, 0xffff, v13
	s_not_b32 s20, s13
	ds_store_2addr_b64 v29, v[9:10], v[11:12] offset0:4 offset1:5
	ds_store_2addr_b64 v30, v[9:10], v[11:12] offset0:2 offset1:3
	s_waitcnt lgkmcnt(0)
	s_barrier
	v_lshrrev_b32_e32 v0, s14, v0
	buffer_gl0_inv
	; wave barrier
	v_and_b32_e32 v1, s20, v0
	s_delay_alu instid0(VALU_DEP_1)
	v_and_b32_e32 v0, 1, v1
	v_lshlrev_b32_e32 v2, 30, v1
	v_lshlrev_b32_e32 v7, 29, v1
	;; [unrolled: 1-line block ×4, first 2 shown]
	v_add_co_u32 v0, s13, v0, -1
	s_delay_alu instid0(VALU_DEP_1)
	v_cndmask_b32_e64 v16, 0, 1, s13
	v_not_b32_e32 v20, v2
	v_cmp_gt_i32_e64 s13, 0, v2
	v_not_b32_e32 v2, v7
	v_lshlrev_b32_e32 v19, 25, v1
	v_cmp_ne_u32_e32 vcc_lo, 0, v16
	v_ashrrev_i32_e32 v20, 31, v20
	s_delay_alu instid0(VALU_DEP_4)
	v_ashrrev_i32_e32 v2, 31, v2
	v_xor_b32_e32 v0, vcc_lo, v0
	v_cmp_gt_i32_e32 vcc_lo, 0, v7
	v_not_b32_e32 v7, v15
	v_xor_b32_e32 v20, s13, v20
	v_cmp_gt_i32_e64 s13, 0, v15
	v_and_b32_e32 v0, exec_lo, v0
	v_not_b32_e32 v15, v17
	v_xor_b32_e32 v2, vcc_lo, v2
	v_cmp_gt_i32_e32 vcc_lo, 0, v17
	v_ashrrev_i32_e32 v7, 31, v7
	v_and_b32_e32 v0, v0, v20
	v_ashrrev_i32_e32 v15, 31, v15
	s_delay_alu instid0(VALU_DEP_3) | instskip(NEXT) | instid1(VALU_DEP_3)
	v_xor_b32_e32 v7, s13, v7
	v_and_b32_e32 v0, v0, v2
	v_not_b32_e32 v2, v19
	s_delay_alu instid0(VALU_DEP_4)
	v_xor_b32_e32 v15, vcc_lo, v15
	v_cmp_gt_i32_e32 vcc_lo, 0, v19
	v_mov_b32_e32 v20, v6
	v_lshlrev_b32_e32 v18, 26, v1
	v_lshlrev_b32_e32 v16, 24, v1
	v_and_b32_e32 v0, v0, v7
	v_ashrrev_i32_e32 v2, 31, v2
	v_lshl_add_u32 v1, v1, 3, v33
	v_not_b32_e32 v17, v18
	v_cmp_gt_i32_e64 s13, 0, v18
	v_not_b32_e32 v7, v16
	v_and_b32_e32 v0, v0, v15
	v_xor_b32_e32 v2, vcc_lo, v2
	v_ashrrev_i32_e32 v17, 31, v17
	v_mov_b32_e32 v19, v5
	v_ashrrev_i32_e32 v7, 31, v7
	s_delay_alu instid0(VALU_DEP_3) | instskip(SKIP_2) | instid1(VALU_DEP_3)
	v_xor_b32_e32 v17, s13, v17
	v_cmp_gt_i32_e64 s13, 0, v16
	v_dual_mov_b32 v15, v25 :: v_dual_mov_b32 v16, v26
	v_and_b32_e32 v0, v0, v17
	s_delay_alu instid0(VALU_DEP_3) | instskip(SKIP_2) | instid1(VALU_DEP_4)
	v_xor_b32_e32 v7, s13, v7
	v_dual_mov_b32 v17, v23 :: v_dual_mov_b32 v18, v24
	v_lshl_add_u32 v24, v1, 2, 32
	v_and_b32_e32 v0, v0, v2
	s_delay_alu instid0(VALU_DEP_1) | instskip(NEXT) | instid1(VALU_DEP_1)
	v_and_b32_e32 v0, v0, v7
	v_mbcnt_lo_u32_b32 v23, v0, 0
	v_cmp_ne_u32_e64 s13, 0, v0
	s_delay_alu instid0(VALU_DEP_2) | instskip(NEXT) | instid1(VALU_DEP_2)
	v_cmp_eq_u32_e32 vcc_lo, 0, v23
	s_and_b32 s21, s13, vcc_lo
	s_delay_alu instid0(SALU_CYCLE_1)
	s_and_saveexec_b32 s13, s21
	s_cbranch_execz .LBB16_21
; %bb.20:                               ;   in Loop: Header=BB16_19 Depth=1
	v_bcnt_u32_b32 v0, v0, 0
	ds_store_b32 v24, v0
.LBB16_21:                              ;   in Loop: Header=BB16_19 Depth=1
	s_or_b32 exec_lo, exec_lo, s13
	v_lshrrev_b32_e32 v44, 16, v13
	; wave barrier
	s_delay_alu instid0(VALU_DEP_1) | instskip(NEXT) | instid1(VALU_DEP_1)
	v_lshrrev_b32_e32 v0, s14, v44
	v_and_b32_e32 v0, s20, v0
	s_delay_alu instid0(VALU_DEP_1)
	v_and_b32_e32 v1, 1, v0
	v_lshlrev_b32_e32 v2, 30, v0
	v_lshlrev_b32_e32 v3, 29, v0
	;; [unrolled: 1-line block ×4, first 2 shown]
	v_add_co_u32 v1, s13, v1, -1
	s_delay_alu instid0(VALU_DEP_1)
	v_cndmask_b32_e64 v5, 0, 1, s13
	v_not_b32_e32 v26, v2
	v_cmp_gt_i32_e64 s13, 0, v2
	v_not_b32_e32 v2, v3
	v_lshlrev_b32_e32 v7, 26, v0
	v_cmp_ne_u32_e32 vcc_lo, 0, v5
	v_ashrrev_i32_e32 v26, 31, v26
	v_lshlrev_b32_e32 v25, 25, v0
	v_ashrrev_i32_e32 v2, 31, v2
	v_lshlrev_b32_e32 v5, 24, v0
	v_xor_b32_e32 v1, vcc_lo, v1
	v_cmp_gt_i32_e32 vcc_lo, 0, v3
	v_not_b32_e32 v3, v4
	v_xor_b32_e32 v26, s13, v26
	v_cmp_gt_i32_e64 s13, 0, v4
	v_and_b32_e32 v1, exec_lo, v1
	v_not_b32_e32 v4, v6
	v_ashrrev_i32_e32 v3, 31, v3
	v_xor_b32_e32 v2, vcc_lo, v2
	v_cmp_gt_i32_e32 vcc_lo, 0, v6
	v_and_b32_e32 v1, v1, v26
	v_not_b32_e32 v6, v7
	v_ashrrev_i32_e32 v4, 31, v4
	v_xor_b32_e32 v3, s13, v3
	v_cmp_gt_i32_e64 s13, 0, v7
	v_and_b32_e32 v1, v1, v2
	v_not_b32_e32 v2, v25
	v_ashrrev_i32_e32 v6, 31, v6
	v_xor_b32_e32 v4, vcc_lo, v4
	v_cmp_gt_i32_e32 vcc_lo, 0, v25
	v_and_b32_e32 v1, v1, v3
	v_not_b32_e32 v3, v5
	v_ashrrev_i32_e32 v2, 31, v2
	v_xor_b32_e32 v6, s13, v6
	v_lshlrev_b32_e32 v0, 3, v0
	v_and_b32_e32 v1, v1, v4
	v_cmp_gt_i32_e64 s13, 0, v5
	v_ashrrev_i32_e32 v3, 31, v3
	v_xor_b32_e32 v2, vcc_lo, v2
	v_add_lshl_u32 v4, v0, v33, 2
	v_and_b32_e32 v1, v1, v6
	s_delay_alu instid0(VALU_DEP_4) | instskip(SKIP_3) | instid1(VALU_DEP_2)
	v_xor_b32_e32 v0, s13, v3
	ds_load_b32 v25, v4 offset:32
	v_and_b32_e32 v1, v1, v2
	v_add_nc_u32_e32 v27, 32, v4
	; wave barrier
	v_and_b32_e32 v0, v1, v0
	s_delay_alu instid0(VALU_DEP_1) | instskip(SKIP_1) | instid1(VALU_DEP_2)
	v_mbcnt_lo_u32_b32 v26, v0, 0
	v_cmp_ne_u32_e64 s13, 0, v0
	v_cmp_eq_u32_e32 vcc_lo, 0, v26
	s_delay_alu instid0(VALU_DEP_2) | instskip(NEXT) | instid1(SALU_CYCLE_1)
	s_and_b32 s21, s13, vcc_lo
	s_and_saveexec_b32 s13, s21
	s_cbranch_execz .LBB16_23
; %bb.22:                               ;   in Loop: Header=BB16_19 Depth=1
	s_waitcnt lgkmcnt(0)
	v_bcnt_u32_b32 v0, v0, v25
	ds_store_b32 v27, v0
.LBB16_23:                              ;   in Loop: Header=BB16_19 Depth=1
	s_or_b32 exec_lo, exec_lo, s13
	v_and_b32_e32 v0, 0xffff, v14
	; wave barrier
	s_delay_alu instid0(VALU_DEP_1) | instskip(NEXT) | instid1(VALU_DEP_1)
	v_lshrrev_b32_e32 v0, s14, v0
	v_and_b32_e32 v0, s20, v0
	s_delay_alu instid0(VALU_DEP_1)
	v_and_b32_e32 v1, 1, v0
	v_lshlrev_b32_e32 v2, 30, v0
	v_lshlrev_b32_e32 v3, 29, v0
	;; [unrolled: 1-line block ×4, first 2 shown]
	v_add_co_u32 v1, s13, v1, -1
	s_delay_alu instid0(VALU_DEP_1)
	v_cndmask_b32_e64 v5, 0, 1, s13
	v_not_b32_e32 v45, v2
	v_cmp_gt_i32_e64 s13, 0, v2
	v_not_b32_e32 v2, v3
	v_lshlrev_b32_e32 v7, 26, v0
	v_cmp_ne_u32_e32 vcc_lo, 0, v5
	v_ashrrev_i32_e32 v45, 31, v45
	v_lshlrev_b32_e32 v28, 25, v0
	v_ashrrev_i32_e32 v2, 31, v2
	v_lshlrev_b32_e32 v5, 24, v0
	v_xor_b32_e32 v1, vcc_lo, v1
	v_cmp_gt_i32_e32 vcc_lo, 0, v3
	v_not_b32_e32 v3, v4
	v_xor_b32_e32 v45, s13, v45
	v_cmp_gt_i32_e64 s13, 0, v4
	v_and_b32_e32 v1, exec_lo, v1
	v_not_b32_e32 v4, v6
	v_ashrrev_i32_e32 v3, 31, v3
	v_xor_b32_e32 v2, vcc_lo, v2
	v_cmp_gt_i32_e32 vcc_lo, 0, v6
	v_and_b32_e32 v1, v1, v45
	v_not_b32_e32 v6, v7
	v_ashrrev_i32_e32 v4, 31, v4
	v_xor_b32_e32 v3, s13, v3
	v_cmp_gt_i32_e64 s13, 0, v7
	v_and_b32_e32 v1, v1, v2
	v_not_b32_e32 v2, v28
	v_ashrrev_i32_e32 v6, 31, v6
	v_xor_b32_e32 v4, vcc_lo, v4
	v_cmp_gt_i32_e32 vcc_lo, 0, v28
	v_and_b32_e32 v1, v1, v3
	v_not_b32_e32 v3, v5
	v_ashrrev_i32_e32 v2, 31, v2
	v_xor_b32_e32 v6, s13, v6
	v_lshlrev_b32_e32 v0, 3, v0
	v_and_b32_e32 v1, v1, v4
	v_cmp_gt_i32_e64 s13, 0, v5
	v_ashrrev_i32_e32 v3, 31, v3
	v_xor_b32_e32 v2, vcc_lo, v2
	v_add_lshl_u32 v4, v0, v33, 2
	v_and_b32_e32 v1, v1, v6
	s_delay_alu instid0(VALU_DEP_4) | instskip(SKIP_3) | instid1(VALU_DEP_2)
	v_xor_b32_e32 v0, s13, v3
	ds_load_b32 v28, v4 offset:32
	v_and_b32_e32 v1, v1, v2
	v_add_nc_u32_e32 v47, 32, v4
	; wave barrier
	v_and_b32_e32 v0, v1, v0
	s_delay_alu instid0(VALU_DEP_1) | instskip(SKIP_1) | instid1(VALU_DEP_2)
	v_mbcnt_lo_u32_b32 v46, v0, 0
	v_cmp_ne_u32_e64 s13, 0, v0
	v_cmp_eq_u32_e32 vcc_lo, 0, v46
	s_delay_alu instid0(VALU_DEP_2) | instskip(NEXT) | instid1(SALU_CYCLE_1)
	s_and_b32 s21, s13, vcc_lo
	s_and_saveexec_b32 s13, s21
	s_cbranch_execz .LBB16_25
; %bb.24:                               ;   in Loop: Header=BB16_19 Depth=1
	s_waitcnt lgkmcnt(0)
	v_bcnt_u32_b32 v0, v0, v28
	ds_store_b32 v47, v0
.LBB16_25:                              ;   in Loop: Header=BB16_19 Depth=1
	s_or_b32 exec_lo, exec_lo, s13
	v_lshrrev_b32_e32 v45, 16, v14
	; wave barrier
	s_delay_alu instid0(VALU_DEP_1) | instskip(NEXT) | instid1(VALU_DEP_1)
	v_lshrrev_b32_e32 v0, s14, v45
	v_and_b32_e32 v0, s20, v0
	s_delay_alu instid0(VALU_DEP_1)
	v_and_b32_e32 v1, 1, v0
	v_lshlrev_b32_e32 v2, 30, v0
	v_lshlrev_b32_e32 v3, 29, v0
	;; [unrolled: 1-line block ×4, first 2 shown]
	v_add_co_u32 v1, s13, v1, -1
	s_delay_alu instid0(VALU_DEP_1)
	v_cndmask_b32_e64 v5, 0, 1, s13
	v_not_b32_e32 v49, v2
	v_cmp_gt_i32_e64 s13, 0, v2
	v_not_b32_e32 v2, v3
	v_lshlrev_b32_e32 v7, 26, v0
	v_cmp_ne_u32_e32 vcc_lo, 0, v5
	v_ashrrev_i32_e32 v49, 31, v49
	v_lshlrev_b32_e32 v48, 25, v0
	v_ashrrev_i32_e32 v2, 31, v2
	v_lshlrev_b32_e32 v5, 24, v0
	v_xor_b32_e32 v1, vcc_lo, v1
	v_cmp_gt_i32_e32 vcc_lo, 0, v3
	v_not_b32_e32 v3, v4
	v_xor_b32_e32 v49, s13, v49
	v_cmp_gt_i32_e64 s13, 0, v4
	v_and_b32_e32 v1, exec_lo, v1
	v_not_b32_e32 v4, v6
	v_ashrrev_i32_e32 v3, 31, v3
	v_xor_b32_e32 v2, vcc_lo, v2
	v_cmp_gt_i32_e32 vcc_lo, 0, v6
	v_and_b32_e32 v1, v1, v49
	v_not_b32_e32 v6, v7
	v_ashrrev_i32_e32 v4, 31, v4
	v_xor_b32_e32 v3, s13, v3
	v_cmp_gt_i32_e64 s13, 0, v7
	v_and_b32_e32 v1, v1, v2
	v_not_b32_e32 v2, v48
	v_ashrrev_i32_e32 v6, 31, v6
	v_xor_b32_e32 v4, vcc_lo, v4
	v_cmp_gt_i32_e32 vcc_lo, 0, v48
	v_and_b32_e32 v1, v1, v3
	v_not_b32_e32 v3, v5
	v_ashrrev_i32_e32 v2, 31, v2
	v_xor_b32_e32 v6, s13, v6
	v_lshlrev_b32_e32 v0, 3, v0
	v_and_b32_e32 v1, v1, v4
	v_cmp_gt_i32_e64 s13, 0, v5
	v_ashrrev_i32_e32 v3, 31, v3
	v_xor_b32_e32 v2, vcc_lo, v2
	v_add_lshl_u32 v4, v0, v33, 2
	v_and_b32_e32 v1, v1, v6
	s_delay_alu instid0(VALU_DEP_4) | instskip(SKIP_3) | instid1(VALU_DEP_2)
	v_xor_b32_e32 v0, s13, v3
	ds_load_b32 v48, v4 offset:32
	v_and_b32_e32 v1, v1, v2
	v_add_nc_u32_e32 v49, 32, v4
	; wave barrier
	v_and_b32_e32 v0, v1, v0
	s_delay_alu instid0(VALU_DEP_1) | instskip(SKIP_1) | instid1(VALU_DEP_2)
	v_mbcnt_lo_u32_b32 v51, v0, 0
	v_cmp_ne_u32_e64 s13, 0, v0
	v_cmp_eq_u32_e32 vcc_lo, 0, v51
	s_delay_alu instid0(VALU_DEP_2) | instskip(NEXT) | instid1(SALU_CYCLE_1)
	s_and_b32 s20, s13, vcc_lo
	s_and_saveexec_b32 s13, s20
	s_cbranch_execz .LBB16_27
; %bb.26:                               ;   in Loop: Header=BB16_19 Depth=1
	s_waitcnt lgkmcnt(0)
	v_bcnt_u32_b32 v0, v0, v48
	ds_store_b32 v49, v0
.LBB16_27:                              ;   in Loop: Header=BB16_19 Depth=1
	s_or_b32 exec_lo, exec_lo, s13
	; wave barrier
	s_waitcnt lgkmcnt(0)
	s_barrier
	buffer_gl0_inv
	ds_load_2addr_b64 v[4:7], v29 offset0:4 offset1:5
	ds_load_2addr_b64 v[0:3], v30 offset0:2 offset1:3
	s_waitcnt lgkmcnt(1)
	v_add_nc_u32_e32 v50, v5, v4
	s_delay_alu instid0(VALU_DEP_1) | instskip(SKIP_1) | instid1(VALU_DEP_1)
	v_add3_u32 v50, v50, v6, v7
	s_waitcnt lgkmcnt(0)
	v_add3_u32 v50, v50, v0, v1
	s_delay_alu instid0(VALU_DEP_1) | instskip(NEXT) | instid1(VALU_DEP_1)
	v_add3_u32 v3, v50, v2, v3
	v_mov_b32_dpp v50, v3 row_shr:1 row_mask:0xf bank_mask:0xf
	s_delay_alu instid0(VALU_DEP_1) | instskip(NEXT) | instid1(VALU_DEP_1)
	v_cndmask_b32_e64 v50, v50, 0, s4
	v_add_nc_u32_e32 v3, v50, v3
	s_delay_alu instid0(VALU_DEP_1) | instskip(NEXT) | instid1(VALU_DEP_1)
	v_mov_b32_dpp v50, v3 row_shr:2 row_mask:0xf bank_mask:0xf
	v_cndmask_b32_e64 v50, 0, v50, s5
	s_delay_alu instid0(VALU_DEP_1) | instskip(NEXT) | instid1(VALU_DEP_1)
	v_add_nc_u32_e32 v3, v3, v50
	v_mov_b32_dpp v50, v3 row_shr:4 row_mask:0xf bank_mask:0xf
	s_delay_alu instid0(VALU_DEP_1) | instskip(NEXT) | instid1(VALU_DEP_1)
	v_cndmask_b32_e64 v50, 0, v50, s6
	v_add_nc_u32_e32 v3, v3, v50
	s_delay_alu instid0(VALU_DEP_1) | instskip(NEXT) | instid1(VALU_DEP_1)
	v_mov_b32_dpp v50, v3 row_shr:8 row_mask:0xf bank_mask:0xf
	v_cndmask_b32_e64 v50, 0, v50, s7
	s_delay_alu instid0(VALU_DEP_1) | instskip(SKIP_3) | instid1(VALU_DEP_1)
	v_add_nc_u32_e32 v3, v3, v50
	ds_swizzle_b32 v50, v3 offset:swizzle(BROADCAST,32,15)
	s_waitcnt lgkmcnt(0)
	v_cndmask_b32_e64 v50, v50, 0, s8
	v_add_nc_u32_e32 v3, v3, v50
	s_and_saveexec_b32 s13, s9
	s_cbranch_execz .LBB16_29
; %bb.28:                               ;   in Loop: Header=BB16_19 Depth=1
	ds_store_b32 v31, v3
.LBB16_29:                              ;   in Loop: Header=BB16_19 Depth=1
	s_or_b32 exec_lo, exec_lo, s13
	s_waitcnt lgkmcnt(0)
	s_barrier
	buffer_gl0_inv
	s_and_saveexec_b32 s13, s0
	s_cbranch_execz .LBB16_31
; %bb.30:                               ;   in Loop: Header=BB16_19 Depth=1
	ds_load_b32 v50, v39
	s_waitcnt lgkmcnt(0)
	v_mov_b32_dpp v52, v50 row_shr:1 row_mask:0xf bank_mask:0xf
	s_delay_alu instid0(VALU_DEP_1) | instskip(NEXT) | instid1(VALU_DEP_1)
	v_cndmask_b32_e64 v52, v52, 0, s10
	v_add_nc_u32_e32 v50, v52, v50
	s_delay_alu instid0(VALU_DEP_1) | instskip(NEXT) | instid1(VALU_DEP_1)
	v_mov_b32_dpp v52, v50 row_shr:2 row_mask:0xf bank_mask:0xf
	v_cndmask_b32_e64 v52, 0, v52, s11
	s_delay_alu instid0(VALU_DEP_1) | instskip(NEXT) | instid1(VALU_DEP_1)
	v_add_nc_u32_e32 v50, v50, v52
	v_mov_b32_dpp v52, v50 row_shr:4 row_mask:0xf bank_mask:0xf
	s_delay_alu instid0(VALU_DEP_1) | instskip(NEXT) | instid1(VALU_DEP_1)
	v_cndmask_b32_e64 v52, 0, v52, s12
	v_add_nc_u32_e32 v50, v50, v52
	ds_store_b32 v39, v50
.LBB16_31:                              ;   in Loop: Header=BB16_19 Depth=1
	s_or_b32 exec_lo, exec_lo, s13
	v_mov_b32_e32 v50, 0
	s_waitcnt lgkmcnt(0)
	s_barrier
	buffer_gl0_inv
	s_and_saveexec_b32 s13, s1
	s_cbranch_execz .LBB16_33
; %bb.32:                               ;   in Loop: Header=BB16_19 Depth=1
	ds_load_b32 v50, v34
.LBB16_33:                              ;   in Loop: Header=BB16_19 Depth=1
	s_or_b32 exec_lo, exec_lo, s13
	s_waitcnt lgkmcnt(0)
	v_add_nc_u32_e32 v3, v50, v3
	s_add_i32 s14, s14, 8
	s_delay_alu instid0(SALU_CYCLE_1) | instskip(SKIP_3) | instid1(VALU_DEP_1)
	s_cmp_ge_u32 s14, s17
	ds_bpermute_b32 v3, v32, v3
	s_waitcnt lgkmcnt(0)
	v_cndmask_b32_e64 v3, v3, v50, s2
	v_cndmask_b32_e64 v3, v3, 0, s3
	s_delay_alu instid0(VALU_DEP_1) | instskip(NEXT) | instid1(VALU_DEP_1)
	v_add_nc_u32_e32 v4, v3, v4
	v_add_nc_u32_e32 v5, v4, v5
	s_delay_alu instid0(VALU_DEP_1) | instskip(NEXT) | instid1(VALU_DEP_1)
	v_add_nc_u32_e32 v6, v5, v6
	v_add_nc_u32_e32 v52, v6, v7
	;; [unrolled: 3-line block ×3, first 2 shown]
	s_delay_alu instid0(VALU_DEP_1)
	v_add_nc_u32_e32 v1, v0, v2
	ds_store_2addr_b64 v29, v[3:4], v[5:6] offset0:4 offset1:5
	ds_store_2addr_b64 v30, v[52:53], v[0:1] offset0:2 offset1:3
	s_waitcnt lgkmcnt(0)
	s_barrier
	buffer_gl0_inv
	ds_load_b32 v0, v24
	ds_load_b32 v1, v27
	ds_load_b32 v2, v47
	ds_load_b32 v3, v49
	s_waitcnt lgkmcnt(0)
	v_add_nc_u32_e32 v50, v0, v23
	v_add3_u32 v49, v26, v25, v1
	v_add3_u32 v47, v46, v28, v2
	;; [unrolled: 1-line block ×3, first 2 shown]
	s_delay_alu instid0(VALU_DEP_4) | instskip(NEXT) | instid1(VALU_DEP_4)
	v_lshlrev_b32_e32 v28, 1, v50
	v_lshlrev_b32_e32 v27, 1, v49
	s_delay_alu instid0(VALU_DEP_4) | instskip(NEXT) | instid1(VALU_DEP_4)
	v_lshlrev_b32_e32 v7, 1, v47
	v_lshlrev_b32_e32 v0, 1, v46
	s_cbranch_scc0 .LBB16_18
; %bb.34:
                                        ; implicit-def: $sgpr14
                                        ; implicit-def: $vgpr1_vgpr2
                                        ; implicit-def: $vgpr3_vgpr4
                                        ; implicit-def: $vgpr5_vgpr6
                                        ; implicit-def: $vgpr23_vgpr24
                                        ; implicit-def: $vgpr25_vgpr26
.LBB16_35:
	v_mad_u64_u32 v[1:2], null, v50, 6, v[28:29]
	v_lshlrev_b32_e32 v9, 1, v8
	v_mad_u64_u32 v[2:3], null, v49, 6, v[27:28]
	v_mad_u64_u32 v[3:4], null, v47, 6, v[7:8]
	s_barrier
	s_delay_alu instid0(VALU_DEP_4)
	v_mad_u64_u32 v[4:5], null, v46, 6, v[0:1]
	buffer_gl0_inv
	ds_store_b16 v28, v13
	ds_store_b16 v27, v44
	;; [unrolled: 1-line block ×4, first 2 shown]
	v_mad_u32_u24 v0, v8, 6, v9
	s_waitcnt lgkmcnt(0)
	s_barrier
	buffer_gl0_inv
	ds_load_u16 v23, v9
	ds_load_u16 v14, v9 offset:512
	ds_load_u16 v13, v9 offset:1024
	ds_load_u16 v12, v9 offset:1536
	s_waitcnt lgkmcnt(0)
	s_barrier
	buffer_gl0_inv
	ds_store_b64 v1, v[21:22]
	ds_store_b64 v2, v[19:20]
	;; [unrolled: 1-line block ×4, first 2 shown]
	s_waitcnt lgkmcnt(0)
	s_barrier
	buffer_gl0_inv
	ds_load_2addr_stride64_b64 v[4:7], v0 offset1:4
	ds_load_2addr_stride64_b64 v[0:3], v0 offset0:8 offset1:12
	s_add_u32 s0, s18, s26
	s_addc_u32 s1, s19, s27
	v_add_co_u32 v9, s0, s0, v9
	s_delay_alu instid0(VALU_DEP_1)
	v_add_co_ci_u32_e64 v10, null, s1, 0, s0
	v_lshlrev_b32_e32 v11, 3, v8
	s_mov_b32 s2, 0
	s_and_not1_b32 vcc_lo, exec_lo, s28
	s_mov_b32 s0, -1
	s_cbranch_vccz .LBB16_39
; %bb.36:
	s_and_not1_b32 vcc_lo, exec_lo, s0
	s_cbranch_vccz .LBB16_40
.LBB16_37:
	s_and_saveexec_b32 s0, s2
	s_cbranch_execnz .LBB16_53
.LBB16_38:
	s_nop 0
	s_sendmsg sendmsg(MSG_DEALLOC_VGPRS)
	s_endpgm
.LBB16_39:
	s_lshl_b64 s[0:1], s[24:25], 3
	s_mov_b32 s2, -1
	s_add_u32 s4, s22, s0
	s_addc_u32 s5, s23, s1
	v_add_co_u32 v15, s0, s4, v11
	s_delay_alu instid0(VALU_DEP_1) | instskip(NEXT) | instid1(VALU_DEP_2)
	v_add_co_ci_u32_e64 v16, null, s5, 0, s0
	v_add_co_u32 v15, vcc_lo, 0x1000, v15
	s_delay_alu instid0(VALU_DEP_2)
	v_add_co_ci_u32_e32 v16, vcc_lo, 0, v16, vcc_lo
	s_clause 0x3
	global_store_b16 v[9:10], v23, off
	global_store_b16 v[9:10], v14, off offset:512
	global_store_b16 v[9:10], v13, off offset:1024
	;; [unrolled: 1-line block ×3, first 2 shown]
	s_waitcnt lgkmcnt(1)
	s_clause 0x1
	global_store_b64 v11, v[6:7], s[4:5] offset:2048
	global_store_b64 v11, v[4:5], s[4:5]
	s_waitcnt lgkmcnt(0)
	global_store_b64 v[15:16], v[0:1], off
	s_cbranch_execnz .LBB16_37
.LBB16_40:
	v_cmp_gt_u32_e32 vcc_lo, s16, v8
	s_and_saveexec_b32 s0, vcc_lo
	s_cbranch_execz .LBB16_42
; %bb.41:
	global_store_b16 v[9:10], v23, off
.LBB16_42:
	s_or_b32 exec_lo, exec_lo, s0
	v_add_nc_u32_e32 v15, 0x100, v8
	s_delay_alu instid0(VALU_DEP_1) | instskip(NEXT) | instid1(VALU_DEP_1)
	v_cmp_gt_u32_e64 s0, s16, v15
	s_and_saveexec_b32 s1, s0
	s_cbranch_execz .LBB16_44
; %bb.43:
	global_store_b16 v[9:10], v14, off offset:512
.LBB16_44:
	s_or_b32 exec_lo, exec_lo, s1
	v_add_nc_u32_e32 v14, 0x200, v8
	s_delay_alu instid0(VALU_DEP_1) | instskip(NEXT) | instid1(VALU_DEP_1)
	v_cmp_gt_u32_e64 s1, s16, v14
	s_and_saveexec_b32 s2, s1
	s_cbranch_execz .LBB16_46
; %bb.45:
	global_store_b16 v[9:10], v13, off offset:1024
.LBB16_46:
	s_or_b32 exec_lo, exec_lo, s2
	v_add_nc_u32_e32 v8, 0x300, v8
	s_delay_alu instid0(VALU_DEP_1) | instskip(NEXT) | instid1(VALU_DEP_1)
	v_cmp_gt_u32_e64 s2, s16, v8
	s_and_saveexec_b32 s3, s2
	s_cbranch_execz .LBB16_48
; %bb.47:
	global_store_b16 v[9:10], v12, off offset:1536
.LBB16_48:
	s_or_b32 exec_lo, exec_lo, s3
	s_lshl_b64 s[4:5], s[24:25], 3
	s_delay_alu instid0(SALU_CYCLE_1) | instskip(SKIP_2) | instid1(VALU_DEP_1)
	s_add_u32 s3, s22, s4
	s_addc_u32 s4, s23, s5
	v_add_co_u32 v8, s3, s3, v11
	v_add_co_ci_u32_e64 v9, null, s4, 0, s3
	s_and_saveexec_b32 s3, vcc_lo
	s_cbranch_execnz .LBB16_57
; %bb.49:
	s_or_b32 exec_lo, exec_lo, s3
	s_and_saveexec_b32 s3, s0
	s_cbranch_execnz .LBB16_58
.LBB16_50:
	s_or_b32 exec_lo, exec_lo, s3
	s_and_saveexec_b32 s0, s1
	s_cbranch_execz .LBB16_52
.LBB16_51:
	s_waitcnt lgkmcnt(1)
	v_add_co_u32 v4, vcc_lo, 0x1000, v8
	v_add_co_ci_u32_e32 v5, vcc_lo, 0, v9, vcc_lo
	s_waitcnt lgkmcnt(0)
	global_store_b64 v[4:5], v[0:1], off
.LBB16_52:
	s_or_b32 exec_lo, exec_lo, s0
	s_and_saveexec_b32 s0, s2
	s_cbranch_execz .LBB16_38
.LBB16_53:
	s_lshl_b64 s[0:1], s[24:25], 3
	s_delay_alu instid0(SALU_CYCLE_1) | instskip(SKIP_3) | instid1(VALU_DEP_1)
	s_add_u32 s0, s22, s0
	s_addc_u32 s1, s23, s1
	s_waitcnt lgkmcnt(0)
	v_add_co_u32 v0, s0, s0, v11
	v_add_co_ci_u32_e64 v1, null, s1, 0, s0
	s_delay_alu instid0(VALU_DEP_2) | instskip(NEXT) | instid1(VALU_DEP_2)
	v_add_co_u32 v0, vcc_lo, 0x1000, v0
	v_add_co_ci_u32_e32 v1, vcc_lo, 0, v1, vcc_lo
	global_store_b64 v[0:1], v[2:3], off offset:2048
	s_nop 0
	s_sendmsg sendmsg(MSG_DEALLOC_VGPRS)
	s_endpgm
.LBB16_54:
	global_load_b64 v[3:4], v[9:10], off
	s_or_b32 exec_lo, exec_lo, s5
                                        ; implicit-def: $vgpr5_vgpr6
	s_and_saveexec_b32 s5, s2
	s_cbranch_execz .LBB16_13
.LBB16_55:
	global_load_b64 v[5:6], v[9:10], off offset:256
	s_or_b32 exec_lo, exec_lo, s5
                                        ; implicit-def: $vgpr23_vgpr24
	s_and_saveexec_b32 s2, s3
	s_cbranch_execz .LBB16_14
.LBB16_56:
	global_load_b64 v[23:24], v[9:10], off offset:512
	s_or_b32 exec_lo, exec_lo, s2
                                        ; implicit-def: $vgpr25_vgpr26
	s_and_saveexec_b32 s2, s4
	s_cbranch_execnz .LBB16_15
	s_branch .LBB16_16
.LBB16_57:
	s_waitcnt lgkmcnt(1)
	global_store_b64 v[8:9], v[4:5], off
	s_or_b32 exec_lo, exec_lo, s3
	s_and_saveexec_b32 s3, s0
	s_cbranch_execz .LBB16_50
.LBB16_58:
	s_waitcnt lgkmcnt(1)
	global_store_b64 v[8:9], v[6:7], off offset:2048
	s_or_b32 exec_lo, exec_lo, s3
	s_and_saveexec_b32 s0, s1
	s_cbranch_execnz .LBB16_51
	s_branch .LBB16_52
	.section	.rodata,"a",@progbits
	.p2align	6, 0x0
	.amdhsa_kernel _ZN7rocprim17ROCPRIM_304000_NS6detail28radix_sort_block_sort_kernelINS1_36wrapped_radix_sort_block_sort_configINS0_13kernel_configILj256ELj4ELj4294967295EEEtN2at4cuda3cub6detail10OpaqueTypeILi8EEEEELb0EPKtPtPKSB_PSB_NS0_19identity_decomposerEEEvT1_T2_T3_T4_jT5_jj
		.amdhsa_group_segment_fixed_size 8224
		.amdhsa_private_segment_fixed_size 0
		.amdhsa_kernarg_size 304
		.amdhsa_user_sgpr_count 15
		.amdhsa_user_sgpr_dispatch_ptr 0
		.amdhsa_user_sgpr_queue_ptr 0
		.amdhsa_user_sgpr_kernarg_segment_ptr 1
		.amdhsa_user_sgpr_dispatch_id 0
		.amdhsa_user_sgpr_private_segment_size 0
		.amdhsa_wavefront_size32 1
		.amdhsa_uses_dynamic_stack 0
		.amdhsa_enable_private_segment 0
		.amdhsa_system_sgpr_workgroup_id_x 1
		.amdhsa_system_sgpr_workgroup_id_y 0
		.amdhsa_system_sgpr_workgroup_id_z 0
		.amdhsa_system_sgpr_workgroup_info 0
		.amdhsa_system_vgpr_workitem_id 2
		.amdhsa_next_free_vgpr 54
		.amdhsa_next_free_sgpr 32
		.amdhsa_reserve_vcc 1
		.amdhsa_float_round_mode_32 0
		.amdhsa_float_round_mode_16_64 0
		.amdhsa_float_denorm_mode_32 3
		.amdhsa_float_denorm_mode_16_64 3
		.amdhsa_dx10_clamp 1
		.amdhsa_ieee_mode 1
		.amdhsa_fp16_overflow 0
		.amdhsa_workgroup_processor_mode 1
		.amdhsa_memory_ordered 1
		.amdhsa_forward_progress 0
		.amdhsa_shared_vgpr_count 0
		.amdhsa_exception_fp_ieee_invalid_op 0
		.amdhsa_exception_fp_denorm_src 0
		.amdhsa_exception_fp_ieee_div_zero 0
		.amdhsa_exception_fp_ieee_overflow 0
		.amdhsa_exception_fp_ieee_underflow 0
		.amdhsa_exception_fp_ieee_inexact 0
		.amdhsa_exception_int_div_zero 0
	.end_amdhsa_kernel
	.section	.text._ZN7rocprim17ROCPRIM_304000_NS6detail28radix_sort_block_sort_kernelINS1_36wrapped_radix_sort_block_sort_configINS0_13kernel_configILj256ELj4ELj4294967295EEEtN2at4cuda3cub6detail10OpaqueTypeILi8EEEEELb0EPKtPtPKSB_PSB_NS0_19identity_decomposerEEEvT1_T2_T3_T4_jT5_jj,"axG",@progbits,_ZN7rocprim17ROCPRIM_304000_NS6detail28radix_sort_block_sort_kernelINS1_36wrapped_radix_sort_block_sort_configINS0_13kernel_configILj256ELj4ELj4294967295EEEtN2at4cuda3cub6detail10OpaqueTypeILi8EEEEELb0EPKtPtPKSB_PSB_NS0_19identity_decomposerEEEvT1_T2_T3_T4_jT5_jj,comdat
.Lfunc_end16:
	.size	_ZN7rocprim17ROCPRIM_304000_NS6detail28radix_sort_block_sort_kernelINS1_36wrapped_radix_sort_block_sort_configINS0_13kernel_configILj256ELj4ELj4294967295EEEtN2at4cuda3cub6detail10OpaqueTypeILi8EEEEELb0EPKtPtPKSB_PSB_NS0_19identity_decomposerEEEvT1_T2_T3_T4_jT5_jj, .Lfunc_end16-_ZN7rocprim17ROCPRIM_304000_NS6detail28radix_sort_block_sort_kernelINS1_36wrapped_radix_sort_block_sort_configINS0_13kernel_configILj256ELj4ELj4294967295EEEtN2at4cuda3cub6detail10OpaqueTypeILi8EEEEELb0EPKtPtPKSB_PSB_NS0_19identity_decomposerEEEvT1_T2_T3_T4_jT5_jj
                                        ; -- End function
	.section	.AMDGPU.csdata,"",@progbits
; Kernel info:
; codeLenInByte = 4152
; NumSgprs: 34
; NumVgprs: 54
; ScratchSize: 0
; MemoryBound: 0
; FloatMode: 240
; IeeeMode: 1
; LDSByteSize: 8224 bytes/workgroup (compile time only)
; SGPRBlocks: 4
; VGPRBlocks: 6
; NumSGPRsForWavesPerEU: 34
; NumVGPRsForWavesPerEU: 54
; Occupancy: 16
; WaveLimiterHint : 1
; COMPUTE_PGM_RSRC2:SCRATCH_EN: 0
; COMPUTE_PGM_RSRC2:USER_SGPR: 15
; COMPUTE_PGM_RSRC2:TRAP_HANDLER: 0
; COMPUTE_PGM_RSRC2:TGID_X_EN: 1
; COMPUTE_PGM_RSRC2:TGID_Y_EN: 0
; COMPUTE_PGM_RSRC2:TGID_Z_EN: 0
; COMPUTE_PGM_RSRC2:TIDIG_COMP_CNT: 2
	.section	.text._ZN7rocprim17ROCPRIM_304000_NS6detail45device_block_merge_mergepath_partition_kernelINS1_37wrapped_merge_sort_block_merge_configINS0_14default_configEtN2at4cuda3cub6detail10OpaqueTypeILi8EEEEEPtjNS1_19radix_merge_compareILb0ELb0EtNS0_19identity_decomposerEEEEEvT0_T1_jPSH_T2_SH_,"axG",@progbits,_ZN7rocprim17ROCPRIM_304000_NS6detail45device_block_merge_mergepath_partition_kernelINS1_37wrapped_merge_sort_block_merge_configINS0_14default_configEtN2at4cuda3cub6detail10OpaqueTypeILi8EEEEEPtjNS1_19radix_merge_compareILb0ELb0EtNS0_19identity_decomposerEEEEEvT0_T1_jPSH_T2_SH_,comdat
	.protected	_ZN7rocprim17ROCPRIM_304000_NS6detail45device_block_merge_mergepath_partition_kernelINS1_37wrapped_merge_sort_block_merge_configINS0_14default_configEtN2at4cuda3cub6detail10OpaqueTypeILi8EEEEEPtjNS1_19radix_merge_compareILb0ELb0EtNS0_19identity_decomposerEEEEEvT0_T1_jPSH_T2_SH_ ; -- Begin function _ZN7rocprim17ROCPRIM_304000_NS6detail45device_block_merge_mergepath_partition_kernelINS1_37wrapped_merge_sort_block_merge_configINS0_14default_configEtN2at4cuda3cub6detail10OpaqueTypeILi8EEEEEPtjNS1_19radix_merge_compareILb0ELb0EtNS0_19identity_decomposerEEEEEvT0_T1_jPSH_T2_SH_
	.globl	_ZN7rocprim17ROCPRIM_304000_NS6detail45device_block_merge_mergepath_partition_kernelINS1_37wrapped_merge_sort_block_merge_configINS0_14default_configEtN2at4cuda3cub6detail10OpaqueTypeILi8EEEEEPtjNS1_19radix_merge_compareILb0ELb0EtNS0_19identity_decomposerEEEEEvT0_T1_jPSH_T2_SH_
	.p2align	8
	.type	_ZN7rocprim17ROCPRIM_304000_NS6detail45device_block_merge_mergepath_partition_kernelINS1_37wrapped_merge_sort_block_merge_configINS0_14default_configEtN2at4cuda3cub6detail10OpaqueTypeILi8EEEEEPtjNS1_19radix_merge_compareILb0ELb0EtNS0_19identity_decomposerEEEEEvT0_T1_jPSH_T2_SH_,@function
_ZN7rocprim17ROCPRIM_304000_NS6detail45device_block_merge_mergepath_partition_kernelINS1_37wrapped_merge_sort_block_merge_configINS0_14default_configEtN2at4cuda3cub6detail10OpaqueTypeILi8EEEEEPtjNS1_19radix_merge_compareILb0ELb0EtNS0_19identity_decomposerEEEEEvT0_T1_jPSH_T2_SH_: ; @_ZN7rocprim17ROCPRIM_304000_NS6detail45device_block_merge_mergepath_partition_kernelINS1_37wrapped_merge_sort_block_merge_configINS0_14default_configEtN2at4cuda3cub6detail10OpaqueTypeILi8EEEEEPtjNS1_19radix_merge_compareILb0ELb0EtNS0_19identity_decomposerEEEEEvT0_T1_jPSH_T2_SH_
; %bb.0:
	s_load_b64 s[2:3], s[0:1], 0x8
	v_lshl_or_b32 v0, s15, 7, v0
	s_waitcnt lgkmcnt(0)
	s_delay_alu instid0(VALU_DEP_1)
	v_cmp_gt_u32_e32 vcc_lo, s3, v0
	s_and_saveexec_b32 s3, vcc_lo
	s_cbranch_execz .LBB17_6
; %bb.1:
	s_load_b32 s3, s[0:1], 0x1c
	s_waitcnt lgkmcnt(0)
	s_lshr_b32 s4, s3, 9
	s_delay_alu instid0(SALU_CYCLE_1) | instskip(NEXT) | instid1(SALU_CYCLE_1)
	s_and_b32 s4, s4, 0x7ffffe
	s_sub_i32 s5, 0, s4
	s_add_i32 s4, s4, -1
	v_and_b32_e32 v1, s5, v0
	v_and_b32_e32 v5, s4, v0
	s_delay_alu instid0(VALU_DEP_2) | instskip(NEXT) | instid1(VALU_DEP_1)
	v_lshlrev_b32_e32 v1, 10, v1
	v_add_nc_u32_e32 v2, s3, v1
	s_delay_alu instid0(VALU_DEP_1) | instskip(SKIP_1) | instid1(VALU_DEP_2)
	v_min_u32_e32 v4, s2, v2
	v_min_u32_e32 v2, s2, v1
	v_add_nc_u32_e32 v3, s3, v4
	s_delay_alu instid0(VALU_DEP_1) | instskip(SKIP_2) | instid1(VALU_DEP_2)
	v_min_u32_e32 v1, s2, v3
	v_lshlrev_b32_e32 v3, 10, v5
	s_mov_b32 s2, exec_lo
	v_sub_nc_u32_e32 v5, v1, v2
	v_sub_nc_u32_e32 v6, v1, v4
	s_delay_alu instid0(VALU_DEP_2) | instskip(SKIP_1) | instid1(VALU_DEP_2)
	v_min_u32_e32 v1, v5, v3
	v_sub_nc_u32_e32 v3, v4, v2
	v_sub_nc_u32_e64 v6, v1, v6 clamp
	s_delay_alu instid0(VALU_DEP_2) | instskip(NEXT) | instid1(VALU_DEP_1)
	v_min_u32_e32 v7, v1, v3
	v_cmpx_lt_u32_e64 v6, v7
	s_cbranch_execz .LBB17_5
; %bb.2:
	s_load_b64 s[4:5], s[0:1], 0x0
	v_mov_b32_e32 v5, 0
	s_mov_b32 s3, 0
	s_delay_alu instid0(VALU_DEP_1) | instskip(SKIP_1) | instid1(VALU_DEP_2)
	v_mov_b32_e32 v3, v5
	v_lshlrev_b64 v[10:11], 1, v[4:5]
	v_lshlrev_b64 v[8:9], 1, v[2:3]
	s_waitcnt lgkmcnt(0)
	s_delay_alu instid0(VALU_DEP_1) | instskip(NEXT) | instid1(VALU_DEP_2)
	v_add_co_u32 v3, vcc_lo, s4, v8
	v_add_co_ci_u32_e32 v8, vcc_lo, s5, v9, vcc_lo
	s_delay_alu instid0(VALU_DEP_4)
	v_add_co_u32 v9, vcc_lo, s4, v10
	v_add_co_ci_u32_e32 v10, vcc_lo, s5, v11, vcc_lo
	.p2align	6
.LBB17_3:                               ; =>This Inner Loop Header: Depth=1
	v_add_nc_u32_e32 v4, v7, v6
	s_delay_alu instid0(VALU_DEP_1) | instskip(SKIP_1) | instid1(VALU_DEP_2)
	v_lshrrev_b32_e32 v15, 1, v4
	v_and_b32_e32 v11, -2, v4
	v_xad_u32 v4, v15, -1, v1
	s_delay_alu instid0(VALU_DEP_2) | instskip(SKIP_1) | instid1(VALU_DEP_3)
	v_add_co_u32 v11, vcc_lo, v3, v11
	v_add_co_ci_u32_e32 v12, vcc_lo, 0, v8, vcc_lo
	v_lshlrev_b64 v[13:14], 1, v[4:5]
	s_delay_alu instid0(VALU_DEP_1) | instskip(NEXT) | instid1(VALU_DEP_2)
	v_add_co_u32 v13, vcc_lo, v9, v13
	v_add_co_ci_u32_e32 v14, vcc_lo, v10, v14, vcc_lo
	s_clause 0x1
	global_load_u16 v4, v[11:12], off
	global_load_u16 v11, v[13:14], off
	v_add_nc_u32_e32 v12, 1, v15
	s_waitcnt vmcnt(0)
	v_cmp_gt_u16_e32 vcc_lo, v4, v11
	s_delay_alu instid0(VALU_DEP_2) | instskip(NEXT) | instid1(VALU_DEP_1)
	v_dual_cndmask_b32 v6, v12, v6 :: v_dual_cndmask_b32 v7, v7, v15
	v_cmp_ge_u32_e32 vcc_lo, v6, v7
	s_or_b32 s3, vcc_lo, s3
	s_delay_alu instid0(SALU_CYCLE_1)
	s_and_not1_b32 exec_lo, exec_lo, s3
	s_cbranch_execnz .LBB17_3
; %bb.4:
	s_or_b32 exec_lo, exec_lo, s3
.LBB17_5:
	s_delay_alu instid0(SALU_CYCLE_1) | instskip(SKIP_2) | instid1(VALU_DEP_1)
	s_or_b32 exec_lo, exec_lo, s2
	s_load_b64 s[0:1], s[0:1], 0x10
	v_dual_mov_b32 v1, 0 :: v_dual_add_nc_u32 v2, v6, v2
	v_lshlrev_b64 v[0:1], 2, v[0:1]
	s_waitcnt lgkmcnt(0)
	s_delay_alu instid0(VALU_DEP_1) | instskip(NEXT) | instid1(VALU_DEP_2)
	v_add_co_u32 v0, vcc_lo, s0, v0
	v_add_co_ci_u32_e32 v1, vcc_lo, s1, v1, vcc_lo
	global_store_b32 v[0:1], v2, off
.LBB17_6:
	s_nop 0
	s_sendmsg sendmsg(MSG_DEALLOC_VGPRS)
	s_endpgm
	.section	.rodata,"a",@progbits
	.p2align	6, 0x0
	.amdhsa_kernel _ZN7rocprim17ROCPRIM_304000_NS6detail45device_block_merge_mergepath_partition_kernelINS1_37wrapped_merge_sort_block_merge_configINS0_14default_configEtN2at4cuda3cub6detail10OpaqueTypeILi8EEEEEPtjNS1_19radix_merge_compareILb0ELb0EtNS0_19identity_decomposerEEEEEvT0_T1_jPSH_T2_SH_
		.amdhsa_group_segment_fixed_size 0
		.amdhsa_private_segment_fixed_size 0
		.amdhsa_kernarg_size 32
		.amdhsa_user_sgpr_count 15
		.amdhsa_user_sgpr_dispatch_ptr 0
		.amdhsa_user_sgpr_queue_ptr 0
		.amdhsa_user_sgpr_kernarg_segment_ptr 1
		.amdhsa_user_sgpr_dispatch_id 0
		.amdhsa_user_sgpr_private_segment_size 0
		.amdhsa_wavefront_size32 1
		.amdhsa_uses_dynamic_stack 0
		.amdhsa_enable_private_segment 0
		.amdhsa_system_sgpr_workgroup_id_x 1
		.amdhsa_system_sgpr_workgroup_id_y 0
		.amdhsa_system_sgpr_workgroup_id_z 0
		.amdhsa_system_sgpr_workgroup_info 0
		.amdhsa_system_vgpr_workitem_id 0
		.amdhsa_next_free_vgpr 16
		.amdhsa_next_free_sgpr 16
		.amdhsa_reserve_vcc 1
		.amdhsa_float_round_mode_32 0
		.amdhsa_float_round_mode_16_64 0
		.amdhsa_float_denorm_mode_32 3
		.amdhsa_float_denorm_mode_16_64 3
		.amdhsa_dx10_clamp 1
		.amdhsa_ieee_mode 1
		.amdhsa_fp16_overflow 0
		.amdhsa_workgroup_processor_mode 1
		.amdhsa_memory_ordered 1
		.amdhsa_forward_progress 0
		.amdhsa_shared_vgpr_count 0
		.amdhsa_exception_fp_ieee_invalid_op 0
		.amdhsa_exception_fp_denorm_src 0
		.amdhsa_exception_fp_ieee_div_zero 0
		.amdhsa_exception_fp_ieee_overflow 0
		.amdhsa_exception_fp_ieee_underflow 0
		.amdhsa_exception_fp_ieee_inexact 0
		.amdhsa_exception_int_div_zero 0
	.end_amdhsa_kernel
	.section	.text._ZN7rocprim17ROCPRIM_304000_NS6detail45device_block_merge_mergepath_partition_kernelINS1_37wrapped_merge_sort_block_merge_configINS0_14default_configEtN2at4cuda3cub6detail10OpaqueTypeILi8EEEEEPtjNS1_19radix_merge_compareILb0ELb0EtNS0_19identity_decomposerEEEEEvT0_T1_jPSH_T2_SH_,"axG",@progbits,_ZN7rocprim17ROCPRIM_304000_NS6detail45device_block_merge_mergepath_partition_kernelINS1_37wrapped_merge_sort_block_merge_configINS0_14default_configEtN2at4cuda3cub6detail10OpaqueTypeILi8EEEEEPtjNS1_19radix_merge_compareILb0ELb0EtNS0_19identity_decomposerEEEEEvT0_T1_jPSH_T2_SH_,comdat
.Lfunc_end17:
	.size	_ZN7rocprim17ROCPRIM_304000_NS6detail45device_block_merge_mergepath_partition_kernelINS1_37wrapped_merge_sort_block_merge_configINS0_14default_configEtN2at4cuda3cub6detail10OpaqueTypeILi8EEEEEPtjNS1_19radix_merge_compareILb0ELb0EtNS0_19identity_decomposerEEEEEvT0_T1_jPSH_T2_SH_, .Lfunc_end17-_ZN7rocprim17ROCPRIM_304000_NS6detail45device_block_merge_mergepath_partition_kernelINS1_37wrapped_merge_sort_block_merge_configINS0_14default_configEtN2at4cuda3cub6detail10OpaqueTypeILi8EEEEEPtjNS1_19radix_merge_compareILb0ELb0EtNS0_19identity_decomposerEEEEEvT0_T1_jPSH_T2_SH_
                                        ; -- End function
	.section	.AMDGPU.csdata,"",@progbits
; Kernel info:
; codeLenInByte = 452
; NumSgprs: 18
; NumVgprs: 16
; ScratchSize: 0
; MemoryBound: 0
; FloatMode: 240
; IeeeMode: 1
; LDSByteSize: 0 bytes/workgroup (compile time only)
; SGPRBlocks: 2
; VGPRBlocks: 1
; NumSGPRsForWavesPerEU: 18
; NumVGPRsForWavesPerEU: 16
; Occupancy: 16
; WaveLimiterHint : 0
; COMPUTE_PGM_RSRC2:SCRATCH_EN: 0
; COMPUTE_PGM_RSRC2:USER_SGPR: 15
; COMPUTE_PGM_RSRC2:TRAP_HANDLER: 0
; COMPUTE_PGM_RSRC2:TGID_X_EN: 1
; COMPUTE_PGM_RSRC2:TGID_Y_EN: 0
; COMPUTE_PGM_RSRC2:TGID_Z_EN: 0
; COMPUTE_PGM_RSRC2:TIDIG_COMP_CNT: 0
	.section	.text._ZN7rocprim17ROCPRIM_304000_NS6detail35device_block_merge_mergepath_kernelINS1_37wrapped_merge_sort_block_merge_configINS0_14default_configEtN2at4cuda3cub6detail10OpaqueTypeILi8EEEEEPtSC_PSA_SD_jNS1_19radix_merge_compareILb0ELb0EtNS0_19identity_decomposerEEEEEvT0_T1_T2_T3_T4_SL_jT5_PKSL_NS1_7vsmem_tE,"axG",@progbits,_ZN7rocprim17ROCPRIM_304000_NS6detail35device_block_merge_mergepath_kernelINS1_37wrapped_merge_sort_block_merge_configINS0_14default_configEtN2at4cuda3cub6detail10OpaqueTypeILi8EEEEEPtSC_PSA_SD_jNS1_19radix_merge_compareILb0ELb0EtNS0_19identity_decomposerEEEEEvT0_T1_T2_T3_T4_SL_jT5_PKSL_NS1_7vsmem_tE,comdat
	.protected	_ZN7rocprim17ROCPRIM_304000_NS6detail35device_block_merge_mergepath_kernelINS1_37wrapped_merge_sort_block_merge_configINS0_14default_configEtN2at4cuda3cub6detail10OpaqueTypeILi8EEEEEPtSC_PSA_SD_jNS1_19radix_merge_compareILb0ELb0EtNS0_19identity_decomposerEEEEEvT0_T1_T2_T3_T4_SL_jT5_PKSL_NS1_7vsmem_tE ; -- Begin function _ZN7rocprim17ROCPRIM_304000_NS6detail35device_block_merge_mergepath_kernelINS1_37wrapped_merge_sort_block_merge_configINS0_14default_configEtN2at4cuda3cub6detail10OpaqueTypeILi8EEEEEPtSC_PSA_SD_jNS1_19radix_merge_compareILb0ELb0EtNS0_19identity_decomposerEEEEEvT0_T1_T2_T3_T4_SL_jT5_PKSL_NS1_7vsmem_tE
	.globl	_ZN7rocprim17ROCPRIM_304000_NS6detail35device_block_merge_mergepath_kernelINS1_37wrapped_merge_sort_block_merge_configINS0_14default_configEtN2at4cuda3cub6detail10OpaqueTypeILi8EEEEEPtSC_PSA_SD_jNS1_19radix_merge_compareILb0ELb0EtNS0_19identity_decomposerEEEEEvT0_T1_T2_T3_T4_SL_jT5_PKSL_NS1_7vsmem_tE
	.p2align	8
	.type	_ZN7rocprim17ROCPRIM_304000_NS6detail35device_block_merge_mergepath_kernelINS1_37wrapped_merge_sort_block_merge_configINS0_14default_configEtN2at4cuda3cub6detail10OpaqueTypeILi8EEEEEPtSC_PSA_SD_jNS1_19radix_merge_compareILb0ELb0EtNS0_19identity_decomposerEEEEEvT0_T1_T2_T3_T4_SL_jT5_PKSL_NS1_7vsmem_tE,@function
_ZN7rocprim17ROCPRIM_304000_NS6detail35device_block_merge_mergepath_kernelINS1_37wrapped_merge_sort_block_merge_configINS0_14default_configEtN2at4cuda3cub6detail10OpaqueTypeILi8EEEEEPtSC_PSA_SD_jNS1_19radix_merge_compareILb0ELb0EtNS0_19identity_decomposerEEEEEvT0_T1_T2_T3_T4_SL_jT5_PKSL_NS1_7vsmem_tE: ; @_ZN7rocprim17ROCPRIM_304000_NS6detail35device_block_merge_mergepath_kernelINS1_37wrapped_merge_sort_block_merge_configINS0_14default_configEtN2at4cuda3cub6detail10OpaqueTypeILi8EEEEEPtSC_PSA_SD_jNS1_19radix_merge_compareILb0ELb0EtNS0_19identity_decomposerEEEEEvT0_T1_T2_T3_T4_SL_jT5_PKSL_NS1_7vsmem_tE
; %bb.0:
	s_clause 0x1
	s_load_b64 s[22:23], s[0:1], 0x40
	s_load_b128 s[16:19], s[0:1], 0x20
	s_add_u32 s20, s0, 64
	s_addc_u32 s21, s1, 0
	s_waitcnt lgkmcnt(0)
	s_mul_i32 s2, s23, s15
	s_delay_alu instid0(SALU_CYCLE_1) | instskip(NEXT) | instid1(SALU_CYCLE_1)
	s_add_i32 s2, s2, s14
	s_mul_i32 s2, s2, s22
	s_delay_alu instid0(SALU_CYCLE_1) | instskip(NEXT) | instid1(SALU_CYCLE_1)
	s_add_i32 s2, s2, s13
	s_cmp_ge_u32 s2, s18
	s_cbranch_scc1 .LBB18_53
; %bb.1:
	s_load_b64 s[4:5], s[0:1], 0x30
	s_lshr_b32 s27, s16, 10
	s_mov_b32 s15, 0
	s_cmp_lg_u32 s2, s27
	s_mov_b32 s3, s15
	s_cselect_b32 s23, -1, 0
	s_lshl_b64 s[6:7], s[2:3], 2
	v_mov_b32_e32 v4, 0
	s_mov_b32 s19, s15
	v_lshlrev_b32_e32 v5, 1, v0
	s_waitcnt lgkmcnt(0)
	s_add_u32 s4, s4, s6
	s_addc_u32 s5, s5, s7
	s_lshl_b32 s12, s2, 10
	s_load_b64 s[24:25], s[4:5], 0x0
	s_load_b256 s[4:11], s[0:1], 0x0
	global_load_b32 v1, v4, s[20:21] offset:14
	s_lshr_b32 s0, s17, 9
	s_delay_alu instid0(SALU_CYCLE_1) | instskip(NEXT) | instid1(SALU_CYCLE_1)
	s_and_b32 s0, s0, 0x7ffffe
	s_sub_i32 s0, 0, s0
	s_delay_alu instid0(SALU_CYCLE_1)
	s_and_b32 s1, s2, s0
	s_or_b32 s0, s2, s0
	s_lshl_b32 s3, s1, 11
	s_lshl_b32 s1, s1, 10
	s_add_i32 s3, s3, s17
	s_sub_i32 s14, s12, s1
	s_sub_i32 s1, s3, s1
	s_add_i32 s3, s3, s14
	s_min_u32 s26, s16, s1
	s_add_i32 s1, s1, s17
	s_waitcnt lgkmcnt(0)
	s_sub_i32 s14, s3, s24
	s_sub_i32 s3, s3, s25
	s_min_u32 s18, s16, s14
	s_addk_i32 s3, 0x400
	s_cmp_eq_u32 s0, -1
	s_mov_b32 s14, s24
	s_cselect_b32 s3, s1, s3
	s_cselect_b32 s17, s26, s25
	s_min_u32 s3, s3, s16
	s_lshl_b64 s[0:1], s[14:15], 1
	s_sub_i32 s17, s17, s24
	s_sub_i32 s24, s3, s18
	s_add_u32 s25, s4, s0
	s_addc_u32 s26, s5, s1
	s_lshl_b64 s[28:29], s[18:19], 1
	v_cmp_gt_u32_e32 vcc_lo, s17, v0
	s_add_u32 s1, s4, s28
	s_addc_u32 s4, s5, s29
	s_cmp_lt_u32 s13, s22
	s_cselect_b32 s0, 12, 18
	s_delay_alu instid0(SALU_CYCLE_1)
	s_add_u32 s20, s20, s0
	s_addc_u32 s21, s21, 0
	s_cmp_eq_u32 s2, s27
	s_mov_b32 s0, -1
	s_waitcnt vmcnt(0)
	v_lshrrev_b32_e32 v3, 16, v1
	v_and_b32_e32 v1, 0xffff, v1
	global_load_u16 v2, v4, s[20:21]
	v_mul_lo_u32 v1, v1, v3
	s_waitcnt vmcnt(0)
	s_delay_alu instid0(VALU_DEP_1) | instskip(NEXT) | instid1(VALU_DEP_1)
	v_mul_lo_u32 v1, v1, v2
	v_add_nc_u32_e32 v1, v1, v0
	s_cbranch_scc1 .LBB18_3
; %bb.2:
	v_subrev_nc_u32_e32 v3, s17, v0
	v_add_co_u32 v6, s0, s25, v5
	s_delay_alu instid0(VALU_DEP_1) | instskip(NEXT) | instid1(VALU_DEP_3)
	v_add_co_ci_u32_e64 v7, null, s26, 0, s0
	v_lshlrev_b64 v[2:3], 1, v[3:4]
	s_add_i32 s3, s24, s17
	s_delay_alu instid0(VALU_DEP_1) | instskip(NEXT) | instid1(VALU_DEP_1)
	v_add_co_u32 v2, s0, s1, v2
	v_add_co_ci_u32_e64 v3, s0, s4, v3, s0
	s_mov_b32 s0, s15
	s_delay_alu instid0(VALU_DEP_1) | instskip(SKIP_3) | instid1(VALU_DEP_2)
	v_dual_cndmask_b32 v2, v2, v6 :: v_dual_cndmask_b32 v3, v3, v7
	global_load_u16 v6, v[2:3], off
	v_mov_b32_e32 v2, v4
	v_subrev_nc_u32_e32 v3, s17, v1
	v_lshlrev_b64 v[7:8], 1, v[1:2]
	s_delay_alu instid0(VALU_DEP_2) | instskip(NEXT) | instid1(VALU_DEP_2)
	v_lshlrev_b64 v[2:3], 1, v[3:4]
	v_add_co_u32 v4, vcc_lo, s25, v7
	s_delay_alu instid0(VALU_DEP_3) | instskip(NEXT) | instid1(VALU_DEP_3)
	v_add_co_ci_u32_e32 v7, vcc_lo, s26, v8, vcc_lo
	v_add_co_u32 v2, vcc_lo, s1, v2
	s_delay_alu instid0(VALU_DEP_4) | instskip(SKIP_1) | instid1(VALU_DEP_2)
	v_add_co_ci_u32_e32 v3, vcc_lo, s4, v3, vcc_lo
	v_cmp_gt_u32_e32 vcc_lo, s17, v1
	v_dual_cndmask_b32 v3, v3, v7 :: v_dual_cndmask_b32 v2, v2, v4
	global_load_d16_hi_b16 v6, v[2:3], off
	s_and_not1_b32 vcc_lo, exec_lo, s0
	s_cbranch_vccz .LBB18_4
	s_branch .LBB18_9
.LBB18_3:
                                        ; implicit-def: $vgpr6
                                        ; implicit-def: $sgpr3
	s_and_not1_b32 vcc_lo, exec_lo, s0
	s_cbranch_vccnz .LBB18_9
.LBB18_4:
	s_add_i32 s3, s24, s17
	s_mov_b32 s0, exec_lo
                                        ; implicit-def: $vgpr6
	v_cmpx_gt_u32_e64 s3, v0
	s_cbranch_execz .LBB18_6
; %bb.5:
	v_subrev_nc_u32_e32 v2, s17, v0
	v_add_co_u32 v4, s2, s25, v5
	v_mov_b32_e32 v3, 0
	s_waitcnt vmcnt(0)
	v_add_co_ci_u32_e64 v6, null, s26, 0, s2
	s_delay_alu instid0(VALU_DEP_2) | instskip(NEXT) | instid1(VALU_DEP_1)
	v_lshlrev_b64 v[2:3], 1, v[2:3]
	v_add_co_u32 v2, vcc_lo, s1, v2
	s_delay_alu instid0(VALU_DEP_2) | instskip(SKIP_1) | instid1(VALU_DEP_2)
	v_add_co_ci_u32_e32 v3, vcc_lo, s4, v3, vcc_lo
	v_cmp_gt_u32_e32 vcc_lo, s17, v0
	v_dual_cndmask_b32 v2, v2, v4 :: v_dual_cndmask_b32 v3, v3, v6
	global_load_d16_b16 v6, v[2:3], off
.LBB18_6:
	s_or_b32 exec_lo, exec_lo, s0
	s_delay_alu instid0(SALU_CYCLE_1)
	s_mov_b32 s2, exec_lo
	v_cmpx_gt_u32_e64 s3, v1
	s_cbranch_execz .LBB18_8
; %bb.7:
	v_mov_b32_e32 v2, 0
	s_delay_alu instid0(VALU_DEP_1) | instskip(NEXT) | instid1(VALU_DEP_1)
	v_lshlrev_b64 v[3:4], 1, v[1:2]
	v_add_co_u32 v3, vcc_lo, s25, v3
	s_delay_alu instid0(VALU_DEP_2) | instskip(SKIP_2) | instid1(VALU_DEP_1)
	v_add_co_ci_u32_e32 v4, vcc_lo, s26, v4, vcc_lo
	v_cmp_gt_u32_e32 vcc_lo, s17, v1
	v_subrev_nc_u32_e32 v1, s17, v1
	v_lshlrev_b64 v[1:2], 1, v[1:2]
	s_delay_alu instid0(VALU_DEP_1) | instskip(NEXT) | instid1(VALU_DEP_1)
	v_add_co_u32 v1, s0, s1, v1
	v_add_co_ci_u32_e64 v2, s0, s4, v2, s0
	s_delay_alu instid0(VALU_DEP_1)
	v_dual_cndmask_b32 v1, v1, v3 :: v_dual_cndmask_b32 v2, v2, v4
	global_load_d16_hi_b16 v6, v[1:2], off
.LBB18_8:
	s_or_b32 exec_lo, exec_lo, s2
.LBB18_9:
	v_min_u32_e32 v2, s3, v5
	s_mov_b32 s0, exec_lo
	s_waitcnt vmcnt(0)
	ds_store_b16 v5, v6
	ds_store_b16_d16_hi v5, v6 offset:1024
	s_waitcnt lgkmcnt(0)
	s_barrier
	v_sub_nc_u32_e64 v1, v2, s24 clamp
	v_min_u32_e32 v3, s17, v2
	buffer_gl0_inv
	v_cmpx_lt_u32_e64 v1, v3
	s_cbranch_execz .LBB18_13
; %bb.10:
	v_lshlrev_b32_e32 v4, 1, v2
	s_mov_b32 s1, 0
	s_delay_alu instid0(VALU_DEP_1)
	v_lshl_add_u32 v4, s17, 1, v4
	.p2align	6
.LBB18_11:                              ; =>This Inner Loop Header: Depth=1
	v_add_nc_u32_e32 v7, v3, v1
	s_delay_alu instid0(VALU_DEP_1) | instskip(SKIP_1) | instid1(VALU_DEP_2)
	v_lshrrev_b32_e32 v8, 1, v7
	v_and_b32_e32 v7, -2, v7
	v_not_b32_e32 v9, v8
	v_add_nc_u32_e32 v10, 1, v8
	s_delay_alu instid0(VALU_DEP_2)
	v_lshl_add_u32 v9, v9, 1, v4
	ds_load_u16 v7, v7
	ds_load_u16 v9, v9
	s_waitcnt lgkmcnt(0)
	v_cmp_gt_u16_e32 vcc_lo, v7, v9
	v_cndmask_b32_e32 v3, v3, v8, vcc_lo
	v_cndmask_b32_e32 v1, v10, v1, vcc_lo
	s_delay_alu instid0(VALU_DEP_1) | instskip(SKIP_1) | instid1(SALU_CYCLE_1)
	v_cmp_ge_u32_e32 vcc_lo, v1, v3
	s_or_b32 s1, vcc_lo, s1
	s_and_not1_b32 exec_lo, exec_lo, s1
	s_cbranch_execnz .LBB18_11
; %bb.12:
	s_or_b32 exec_lo, exec_lo, s1
.LBB18_13:
	s_delay_alu instid0(SALU_CYCLE_1) | instskip(SKIP_2) | instid1(VALU_DEP_2)
	s_or_b32 exec_lo, exec_lo, s0
	v_sub_nc_u32_e32 v2, v2, v1
	v_cmp_ge_u32_e32 vcc_lo, s17, v1
                                        ; implicit-def: $vgpr8
                                        ; implicit-def: $vgpr9
	v_add_nc_u32_e32 v2, s17, v2
	s_delay_alu instid0(VALU_DEP_1) | instskip(NEXT) | instid1(VALU_DEP_1)
	v_cmp_ge_u32_e64 s0, s3, v2
	s_or_b32 s0, vcc_lo, s0
	s_delay_alu instid0(SALU_CYCLE_1)
	s_and_saveexec_b32 s4, s0
	s_cbranch_execz .LBB18_19
; %bb.14:
	v_cmp_gt_u32_e32 vcc_lo, s17, v1
                                        ; implicit-def: $vgpr3
	s_and_saveexec_b32 s0, vcc_lo
	s_cbranch_execz .LBB18_16
; %bb.15:
	v_lshlrev_b32_e32 v3, 1, v1
	ds_load_u16 v3, v3
.LBB18_16:
	s_or_b32 exec_lo, exec_lo, s0
	v_cmp_le_u32_e64 s0, s3, v2
	s_mov_b32 s2, exec_lo
                                        ; implicit-def: $vgpr4
	v_cmpx_gt_u32_e64 s3, v2
	s_cbranch_execz .LBB18_18
; %bb.17:
	v_lshlrev_b32_e32 v4, 1, v2
	ds_load_u16 v4, v4
.LBB18_18:
	s_or_b32 exec_lo, exec_lo, s2
	s_waitcnt lgkmcnt(0)
	v_cmp_le_u16_e64 s1, v3, v4
	s_delay_alu instid0(VALU_DEP_1) | instskip(NEXT) | instid1(SALU_CYCLE_1)
	s_and_b32 s1, vcc_lo, s1
	s_or_b32 vcc_lo, s0, s1
	v_dual_mov_b32 v6, s17 :: v_dual_cndmask_b32 v9, v2, v1
	s_delay_alu instid0(VALU_DEP_1) | instskip(NEXT) | instid1(VALU_DEP_1)
	v_dual_cndmask_b32 v6, s3, v6 :: v_dual_add_nc_u32 v7, 1, v9
	v_dual_cndmask_b32 v1, v1, v7 :: v_dual_add_nc_u32 v6, -1, v6
	v_cndmask_b32_e32 v2, v7, v2, vcc_lo
	s_delay_alu instid0(VALU_DEP_2) | instskip(NEXT) | instid1(VALU_DEP_3)
	v_min_u32_e32 v6, v7, v6
	v_cmp_gt_u32_e64 s0, s17, v1
	s_delay_alu instid0(VALU_DEP_3) | instskip(NEXT) | instid1(VALU_DEP_3)
	v_cmp_le_u32_e64 s2, s3, v2
	v_lshlrev_b32_e32 v6, 1, v6
	ds_load_u16 v6, v6
	s_waitcnt lgkmcnt(0)
	v_cndmask_b32_e32 v10, v6, v4, vcc_lo
	v_dual_cndmask_b32 v6, v3, v6 :: v_dual_cndmask_b32 v3, v4, v3
	s_delay_alu instid0(VALU_DEP_1) | instskip(NEXT) | instid1(VALU_DEP_1)
	v_cmp_le_u16_e64 s1, v6, v10
	s_and_b32 s0, s0, s1
	s_delay_alu instid0(SALU_CYCLE_1) | instskip(SKIP_2) | instid1(VALU_DEP_1)
	s_or_b32 vcc_lo, s2, s0
	v_cndmask_b32_e32 v8, v2, v1, vcc_lo
	v_cndmask_b32_e32 v1, v10, v6, vcc_lo
	v_perm_b32 v6, v1, v3, 0x5040100
.LBB18_19:
	s_or_b32 exec_lo, exec_lo, s4
	s_lshl_b64 s[0:1], s[14:15], 3
	v_or_b32_e32 v7, 0x200, v0
	s_add_u32 s2, s8, s0
	s_addc_u32 s4, s9, s1
	s_lshl_b64 s[14:15], s[18:19], 3
	v_cmp_gt_u32_e64 s1, s17, v0
	v_cmp_le_u32_e64 s0, s17, v0
	s_add_u32 s8, s8, s14
	s_mov_b32 s5, 0
	s_addc_u32 s9, s9, s15
	s_and_not1_b32 vcc_lo, exec_lo, s23
	s_barrier
	buffer_gl0_inv
	s_cbranch_vccnz .LBB18_21
; %bb.20:
	v_subrev_nc_u32_e32 v1, s17, v0
	v_mov_b32_e32 v2, 0
	v_lshlrev_b32_e32 v12, 3, v0
	s_delay_alu instid0(VALU_DEP_2) | instskip(NEXT) | instid1(VALU_DEP_2)
	v_lshlrev_b64 v[3:4], 3, v[1:2]
	v_add_co_u32 v13, s5, s2, v12
	s_delay_alu instid0(VALU_DEP_1) | instskip(SKIP_1) | instid1(VALU_DEP_3)
	v_add_co_ci_u32_e64 v14, null, s4, 0, s5
	s_mov_b32 s5, -1
	v_add_co_u32 v1, vcc_lo, s8, v3
	s_delay_alu instid0(VALU_DEP_4) | instskip(NEXT) | instid1(VALU_DEP_1)
	v_add_co_ci_u32_e32 v3, vcc_lo, s9, v4, vcc_lo
	v_cndmask_b32_e64 v4, v3, v14, s1
	s_delay_alu instid0(VALU_DEP_3)
	v_cndmask_b32_e64 v3, v1, v13, s1
	v_subrev_nc_u32_e32 v1, s17, v7
	global_load_b64 v[10:11], v[3:4], off
	v_lshlrev_b64 v[1:2], 3, v[1:2]
	v_add_co_u32 v3, vcc_lo, 0x1000, v13
	v_add_co_ci_u32_e32 v4, vcc_lo, 0, v14, vcc_lo
	s_delay_alu instid0(VALU_DEP_3) | instskip(NEXT) | instid1(VALU_DEP_4)
	v_add_co_u32 v1, vcc_lo, s8, v1
	v_add_co_ci_u32_e32 v2, vcc_lo, s9, v2, vcc_lo
	v_cmp_gt_u32_e32 vcc_lo, s17, v7
	s_delay_alu instid0(VALU_DEP_2)
	v_dual_cndmask_b32 v1, v1, v3 :: v_dual_cndmask_b32 v2, v2, v4
	v_or_b32_e32 v4, 0x1000, v12
	s_waitcnt vmcnt(0)
	ds_store_b64 v12, v[10:11]
	s_cbranch_execz .LBB18_22
	s_branch .LBB18_33
.LBB18_21:
                                        ; implicit-def: $vgpr4
                                        ; implicit-def: $vgpr1_vgpr2
.LBB18_22:
	s_mov_b32 s1, 0
                                        ; implicit-def: $vgpr1_vgpr2
	s_and_saveexec_b32 s13, s0
	s_delay_alu instid0(SALU_CYCLE_1)
	s_xor_b32 s0, exec_lo, s13
	s_cbranch_execnz .LBB18_54
; %bb.23:
	s_and_not1_saveexec_b32 s0, s0
	s_cbranch_execnz .LBB18_57
.LBB18_24:
	s_or_b32 exec_lo, exec_lo, s0
	s_and_saveexec_b32 s0, s1
	s_cbranch_execz .LBB18_26
.LBB18_25:
	global_load_b64 v[1:2], v[1:2], off
	v_mad_u32_u24 v3, v0, 6, v5
	s_waitcnt vmcnt(0)
	ds_store_b64 v3, v[1:2]
.LBB18_26:
	s_or_b32 exec_lo, exec_lo, s0
	s_delay_alu instid0(SALU_CYCLE_1)
	s_mov_b32 s0, exec_lo
                                        ; implicit-def: $vgpr4
                                        ; implicit-def: $vgpr1_vgpr2
	v_cmpx_le_u32_e64 s17, v7
	s_xor_b32 s0, exec_lo, s0
	s_cbranch_execz .LBB18_30
; %bb.27:
	v_subrev_nc_u32_e32 v3, s17, v7
	s_mov_b32 s13, s5
	s_mov_b32 s1, exec_lo
                                        ; implicit-def: $vgpr4
                                        ; implicit-def: $vgpr1_vgpr2
	s_delay_alu instid0(VALU_DEP_1)
	v_cmpx_gt_u32_e64 s24, v3
; %bb.28:
	v_mov_b32_e32 v4, 0
	v_mul_u32_u24_e32 v10, 6, v0
	s_or_b32 s13, s5, exec_lo
	s_delay_alu instid0(VALU_DEP_2) | instskip(NEXT) | instid1(VALU_DEP_2)
	v_lshlrev_b64 v[1:2], 3, v[3:4]
	v_add3_u32 v4, v5, v10, 0x1000
	s_delay_alu instid0(VALU_DEP_2) | instskip(NEXT) | instid1(VALU_DEP_3)
	v_add_co_u32 v1, vcc_lo, s8, v1
	v_add_co_ci_u32_e32 v2, vcc_lo, s9, v2, vcc_lo
; %bb.29:
	s_or_b32 exec_lo, exec_lo, s1
	s_delay_alu instid0(SALU_CYCLE_1) | instskip(SKIP_1) | instid1(SALU_CYCLE_1)
	s_and_not1_b32 s1, s5, exec_lo
	s_and_b32 s5, s13, exec_lo
	s_or_b32 s5, s1, s5
.LBB18_30:
	s_and_not1_saveexec_b32 s0, s0
; %bb.31:
	v_lshlrev_b32_e32 v1, 3, v7
	v_mul_u32_u24_e32 v3, 6, v0
	s_or_b32 s5, s5, exec_lo
	s_delay_alu instid0(VALU_DEP_2) | instskip(NEXT) | instid1(VALU_DEP_1)
	v_add_co_u32 v1, s1, s2, v1
	v_add_co_ci_u32_e64 v2, null, s4, 0, s1
	s_delay_alu instid0(VALU_DEP_3)
	v_add3_u32 v4, v5, v3, 0x1000
; %bb.32:
	s_or_b32 exec_lo, exec_lo, s0
.LBB18_33:
	s_and_saveexec_b32 s0, s5
	s_cbranch_execz .LBB18_35
; %bb.34:
	global_load_b64 v[1:2], v[1:2], off
	s_waitcnt vmcnt(0)
	ds_store_b64 v4, v[1:2]
.LBB18_35:
	s_or_b32 exec_lo, exec_lo, s0
	v_add_nc_u32_e32 v1, s12, v5
	s_and_not1_b32 vcc_lo, exec_lo, s23
	s_waitcnt lgkmcnt(0)
	s_barrier
	buffer_gl0_inv
	s_cbranch_vccnz .LBB18_37
; %bb.36:
	v_lshlrev_b32_e32 v2, 3, v9
	s_mov_b32 s0, -1
	ds_load_b64 v[3:4], v2
	v_mov_b32_e32 v2, 0
	s_delay_alu instid0(VALU_DEP_1) | instskip(NEXT) | instid1(VALU_DEP_1)
	v_lshlrev_b64 v[10:11], 3, v[1:2]
	v_add_co_u32 v10, vcc_lo, s10, v10
	s_delay_alu instid0(VALU_DEP_2)
	v_add_co_ci_u32_e32 v11, vcc_lo, s11, v11, vcc_lo
	s_waitcnt lgkmcnt(0)
	global_store_b64 v[10:11], v[3:4], off
	s_cbranch_execz .LBB18_38
	s_branch .LBB18_43
.LBB18_37:
	s_mov_b32 s0, 0
.LBB18_38:
	s_mov_b32 s1, exec_lo
	v_cmpx_gt_u32_e64 s3, v5
	s_cbranch_execz .LBB18_40
; %bb.39:
	v_lshlrev_b32_e32 v2, 3, v9
	ds_load_b64 v[3:4], v2
	v_mov_b32_e32 v2, 0
	s_delay_alu instid0(VALU_DEP_1) | instskip(NEXT) | instid1(VALU_DEP_1)
	v_lshlrev_b64 v[9:10], 3, v[1:2]
	v_add_co_u32 v9, vcc_lo, s10, v9
	s_delay_alu instid0(VALU_DEP_2)
	v_add_co_ci_u32_e32 v10, vcc_lo, s11, v10, vcc_lo
	s_waitcnt lgkmcnt(0)
	global_store_b64 v[9:10], v[3:4], off
.LBB18_40:
	s_or_b32 exec_lo, exec_lo, s1
	v_or_b32_e32 v2, 1, v5
	s_mov_b32 s1, exec_lo
	s_delay_alu instid0(VALU_DEP_1)
	v_cmpx_gt_u32_e64 s3, v2
; %bb.41:
	v_mov_b32_e32 v2, 0
	s_or_b32 s0, s0, exec_lo
; %bb.42:
	s_or_b32 exec_lo, exec_lo, s1
.LBB18_43:
	s_and_saveexec_b32 s1, s0
	s_cbranch_execz .LBB18_45
; %bb.44:
	v_lshlrev_b32_e32 v3, 3, v8
	v_lshlrev_b64 v[1:2], 3, v[1:2]
	ds_load_b64 v[3:4], v3
	v_add_co_u32 v1, vcc_lo, s10, v1
	v_add_co_ci_u32_e32 v2, vcc_lo, s11, v2, vcc_lo
	s_waitcnt lgkmcnt(0)
	global_store_b64 v[1:2], v[3:4], off offset:8
.LBB18_45:
	s_or_b32 exec_lo, exec_lo, s1
	v_lshrrev_b32_e32 v1, 3, v0
	v_lshrrev_b32_e32 v2, 4, v0
	;; [unrolled: 1-line block ×3, first 2 shown]
	s_mov_b32 s13, 0
	s_waitcnt_vscnt null, 0x0
	v_and_b32_e32 v1, 60, v1
	s_lshl_b64 s[0:1], s[12:13], 1
	v_and_b32_e32 v2, 28, v2
	v_and_b32_e32 v4, 60, v3
	s_add_u32 s0, s6, s0
	v_lshl_add_u32 v1, v5, 1, v1
	s_barrier
	buffer_gl0_inv
	s_barrier
	buffer_gl0_inv
	s_addc_u32 s1, s7, s1
	ds_store_b32 v1, v6
	v_add_co_u32 v1, s0, s0, v5
	v_add_nc_u32_e32 v3, v5, v2
	v_add_nc_u32_e32 v6, v5, v4
	v_add_co_ci_u32_e64 v2, null, s1, 0, s0
	s_and_b32 vcc_lo, exec_lo, s23
	s_waitcnt lgkmcnt(0)
	s_cbranch_vccz .LBB18_47
; %bb.46:
	s_barrier
	buffer_gl0_inv
	ds_load_u16 v5, v3
	ds_load_u16 v4, v6 offset:1024
	s_mov_b32 s13, -1
	s_waitcnt lgkmcnt(1)
	global_store_b16 v[1:2], v5, off
	s_cbranch_execz .LBB18_48
	s_branch .LBB18_51
.LBB18_47:
                                        ; implicit-def: $vgpr4
.LBB18_48:
	s_waitcnt lgkmcnt(0)
	s_waitcnt_vscnt null, 0x0
	s_barrier
	buffer_gl0_inv
	ds_load_u16 v4, v6 offset:1024
	s_sub_i32 s0, s16, s12
	s_mov_b32 s1, exec_lo
	v_cmpx_gt_u32_e64 s0, v0
	s_cbranch_execz .LBB18_50
; %bb.49:
	ds_load_u16 v0, v3
	s_waitcnt lgkmcnt(0)
	global_store_b16 v[1:2], v0, off
.LBB18_50:
	s_or_b32 exec_lo, exec_lo, s1
	v_cmp_gt_u32_e64 s13, s0, v7
.LBB18_51:
	s_delay_alu instid0(VALU_DEP_1)
	s_and_saveexec_b32 s0, s13
	s_cbranch_execz .LBB18_53
; %bb.52:
	s_waitcnt lgkmcnt(0)
	global_store_b16 v[1:2], v4, off offset:1024
.LBB18_53:
	s_nop 0
	s_sendmsg sendmsg(MSG_DEALLOC_VGPRS)
	s_endpgm
.LBB18_54:
	v_subrev_nc_u32_e32 v3, s17, v0
	s_mov_b32 s13, exec_lo
                                        ; implicit-def: $vgpr1_vgpr2
	s_delay_alu instid0(VALU_DEP_1)
	v_cmpx_gt_u32_e64 s24, v3
	s_xor_b32 s13, exec_lo, s13
; %bb.55:
	v_mov_b32_e32 v4, 0
	s_mov_b32 s1, exec_lo
	s_delay_alu instid0(VALU_DEP_1) | instskip(NEXT) | instid1(VALU_DEP_1)
	v_lshlrev_b64 v[1:2], 3, v[3:4]
	v_add_co_u32 v1, vcc_lo, s8, v1
	s_delay_alu instid0(VALU_DEP_2)
	v_add_co_ci_u32_e32 v2, vcc_lo, s9, v2, vcc_lo
; %bb.56:
	s_or_b32 exec_lo, exec_lo, s13
	s_delay_alu instid0(SALU_CYCLE_1)
	s_and_b32 s1, s1, exec_lo
	s_and_not1_saveexec_b32 s0, s0
	s_cbranch_execz .LBB18_24
.LBB18_57:
	v_lshlrev_b32_e32 v1, 3, v0
	s_or_b32 s1, s1, exec_lo
	s_delay_alu instid0(VALU_DEP_1) | instskip(NEXT) | instid1(VALU_DEP_1)
	v_add_co_u32 v1, s13, s2, v1
	v_add_co_ci_u32_e64 v2, null, s4, 0, s13
	s_or_b32 exec_lo, exec_lo, s0
	s_and_saveexec_b32 s0, s1
	s_cbranch_execnz .LBB18_25
	s_branch .LBB18_26
	.section	.rodata,"a",@progbits
	.p2align	6, 0x0
	.amdhsa_kernel _ZN7rocprim17ROCPRIM_304000_NS6detail35device_block_merge_mergepath_kernelINS1_37wrapped_merge_sort_block_merge_configINS0_14default_configEtN2at4cuda3cub6detail10OpaqueTypeILi8EEEEEPtSC_PSA_SD_jNS1_19radix_merge_compareILb0ELb0EtNS0_19identity_decomposerEEEEEvT0_T1_T2_T3_T4_SL_jT5_PKSL_NS1_7vsmem_tE
		.amdhsa_group_segment_fixed_size 8208
		.amdhsa_private_segment_fixed_size 0
		.amdhsa_kernarg_size 320
		.amdhsa_user_sgpr_count 13
		.amdhsa_user_sgpr_dispatch_ptr 0
		.amdhsa_user_sgpr_queue_ptr 0
		.amdhsa_user_sgpr_kernarg_segment_ptr 1
		.amdhsa_user_sgpr_dispatch_id 0
		.amdhsa_user_sgpr_private_segment_size 0
		.amdhsa_wavefront_size32 1
		.amdhsa_uses_dynamic_stack 0
		.amdhsa_enable_private_segment 0
		.amdhsa_system_sgpr_workgroup_id_x 1
		.amdhsa_system_sgpr_workgroup_id_y 1
		.amdhsa_system_sgpr_workgroup_id_z 1
		.amdhsa_system_sgpr_workgroup_info 0
		.amdhsa_system_vgpr_workitem_id 0
		.amdhsa_next_free_vgpr 15
		.amdhsa_next_free_sgpr 30
		.amdhsa_reserve_vcc 1
		.amdhsa_float_round_mode_32 0
		.amdhsa_float_round_mode_16_64 0
		.amdhsa_float_denorm_mode_32 3
		.amdhsa_float_denorm_mode_16_64 3
		.amdhsa_dx10_clamp 1
		.amdhsa_ieee_mode 1
		.amdhsa_fp16_overflow 0
		.amdhsa_workgroup_processor_mode 1
		.amdhsa_memory_ordered 1
		.amdhsa_forward_progress 0
		.amdhsa_shared_vgpr_count 0
		.amdhsa_exception_fp_ieee_invalid_op 0
		.amdhsa_exception_fp_denorm_src 0
		.amdhsa_exception_fp_ieee_div_zero 0
		.amdhsa_exception_fp_ieee_overflow 0
		.amdhsa_exception_fp_ieee_underflow 0
		.amdhsa_exception_fp_ieee_inexact 0
		.amdhsa_exception_int_div_zero 0
	.end_amdhsa_kernel
	.section	.text._ZN7rocprim17ROCPRIM_304000_NS6detail35device_block_merge_mergepath_kernelINS1_37wrapped_merge_sort_block_merge_configINS0_14default_configEtN2at4cuda3cub6detail10OpaqueTypeILi8EEEEEPtSC_PSA_SD_jNS1_19radix_merge_compareILb0ELb0EtNS0_19identity_decomposerEEEEEvT0_T1_T2_T3_T4_SL_jT5_PKSL_NS1_7vsmem_tE,"axG",@progbits,_ZN7rocprim17ROCPRIM_304000_NS6detail35device_block_merge_mergepath_kernelINS1_37wrapped_merge_sort_block_merge_configINS0_14default_configEtN2at4cuda3cub6detail10OpaqueTypeILi8EEEEEPtSC_PSA_SD_jNS1_19radix_merge_compareILb0ELb0EtNS0_19identity_decomposerEEEEEvT0_T1_T2_T3_T4_SL_jT5_PKSL_NS1_7vsmem_tE,comdat
.Lfunc_end18:
	.size	_ZN7rocprim17ROCPRIM_304000_NS6detail35device_block_merge_mergepath_kernelINS1_37wrapped_merge_sort_block_merge_configINS0_14default_configEtN2at4cuda3cub6detail10OpaqueTypeILi8EEEEEPtSC_PSA_SD_jNS1_19radix_merge_compareILb0ELb0EtNS0_19identity_decomposerEEEEEvT0_T1_T2_T3_T4_SL_jT5_PKSL_NS1_7vsmem_tE, .Lfunc_end18-_ZN7rocprim17ROCPRIM_304000_NS6detail35device_block_merge_mergepath_kernelINS1_37wrapped_merge_sort_block_merge_configINS0_14default_configEtN2at4cuda3cub6detail10OpaqueTypeILi8EEEEEPtSC_PSA_SD_jNS1_19radix_merge_compareILb0ELb0EtNS0_19identity_decomposerEEEEEvT0_T1_T2_T3_T4_SL_jT5_PKSL_NS1_7vsmem_tE
                                        ; -- End function
	.section	.AMDGPU.csdata,"",@progbits
; Kernel info:
; codeLenInByte = 2428
; NumSgprs: 32
; NumVgprs: 15
; ScratchSize: 0
; MemoryBound: 1
; FloatMode: 240
; IeeeMode: 1
; LDSByteSize: 8208 bytes/workgroup (compile time only)
; SGPRBlocks: 3
; VGPRBlocks: 1
; NumSGPRsForWavesPerEU: 32
; NumVGPRsForWavesPerEU: 15
; Occupancy: 16
; WaveLimiterHint : 1
; COMPUTE_PGM_RSRC2:SCRATCH_EN: 0
; COMPUTE_PGM_RSRC2:USER_SGPR: 13
; COMPUTE_PGM_RSRC2:TRAP_HANDLER: 0
; COMPUTE_PGM_RSRC2:TGID_X_EN: 1
; COMPUTE_PGM_RSRC2:TGID_Y_EN: 1
; COMPUTE_PGM_RSRC2:TGID_Z_EN: 1
; COMPUTE_PGM_RSRC2:TIDIG_COMP_CNT: 0
	.section	.text._ZN7rocprim17ROCPRIM_304000_NS6detail33device_block_merge_oddeven_kernelINS1_37wrapped_merge_sort_block_merge_configINS0_14default_configEtN2at4cuda3cub6detail10OpaqueTypeILi8EEEEEPtSC_PSA_SD_jNS1_19radix_merge_compareILb0ELb0EtNS0_19identity_decomposerEEEEEvT0_T1_T2_T3_T4_SL_T5_,"axG",@progbits,_ZN7rocprim17ROCPRIM_304000_NS6detail33device_block_merge_oddeven_kernelINS1_37wrapped_merge_sort_block_merge_configINS0_14default_configEtN2at4cuda3cub6detail10OpaqueTypeILi8EEEEEPtSC_PSA_SD_jNS1_19radix_merge_compareILb0ELb0EtNS0_19identity_decomposerEEEEEvT0_T1_T2_T3_T4_SL_T5_,comdat
	.protected	_ZN7rocprim17ROCPRIM_304000_NS6detail33device_block_merge_oddeven_kernelINS1_37wrapped_merge_sort_block_merge_configINS0_14default_configEtN2at4cuda3cub6detail10OpaqueTypeILi8EEEEEPtSC_PSA_SD_jNS1_19radix_merge_compareILb0ELb0EtNS0_19identity_decomposerEEEEEvT0_T1_T2_T3_T4_SL_T5_ ; -- Begin function _ZN7rocprim17ROCPRIM_304000_NS6detail33device_block_merge_oddeven_kernelINS1_37wrapped_merge_sort_block_merge_configINS0_14default_configEtN2at4cuda3cub6detail10OpaqueTypeILi8EEEEEPtSC_PSA_SD_jNS1_19radix_merge_compareILb0ELb0EtNS0_19identity_decomposerEEEEEvT0_T1_T2_T3_T4_SL_T5_
	.globl	_ZN7rocprim17ROCPRIM_304000_NS6detail33device_block_merge_oddeven_kernelINS1_37wrapped_merge_sort_block_merge_configINS0_14default_configEtN2at4cuda3cub6detail10OpaqueTypeILi8EEEEEPtSC_PSA_SD_jNS1_19radix_merge_compareILb0ELb0EtNS0_19identity_decomposerEEEEEvT0_T1_T2_T3_T4_SL_T5_
	.p2align	8
	.type	_ZN7rocprim17ROCPRIM_304000_NS6detail33device_block_merge_oddeven_kernelINS1_37wrapped_merge_sort_block_merge_configINS0_14default_configEtN2at4cuda3cub6detail10OpaqueTypeILi8EEEEEPtSC_PSA_SD_jNS1_19radix_merge_compareILb0ELb0EtNS0_19identity_decomposerEEEEEvT0_T1_T2_T3_T4_SL_T5_,@function
_ZN7rocprim17ROCPRIM_304000_NS6detail33device_block_merge_oddeven_kernelINS1_37wrapped_merge_sort_block_merge_configINS0_14default_configEtN2at4cuda3cub6detail10OpaqueTypeILi8EEEEEPtSC_PSA_SD_jNS1_19radix_merge_compareILb0ELb0EtNS0_19identity_decomposerEEEEEvT0_T1_T2_T3_T4_SL_T5_: ; @_ZN7rocprim17ROCPRIM_304000_NS6detail33device_block_merge_oddeven_kernelINS1_37wrapped_merge_sort_block_merge_configINS0_14default_configEtN2at4cuda3cub6detail10OpaqueTypeILi8EEEEEPtSC_PSA_SD_jNS1_19radix_merge_compareILb0ELb0EtNS0_19identity_decomposerEEEEEvT0_T1_T2_T3_T4_SL_T5_
; %bb.0:
	s_load_b64 s[16:17], s[0:1], 0x20
	s_waitcnt lgkmcnt(0)
	s_lshr_b32 s2, s16, 8
	s_delay_alu instid0(SALU_CYCLE_1) | instskip(SKIP_4) | instid1(SALU_CYCLE_1)
	s_cmp_lg_u32 s15, s2
	s_cselect_b32 s4, -1, 0
	s_cmp_eq_u32 s15, s2
	s_cselect_b32 s3, -1, 0
	s_lshl_b32 s12, s15, 8
	s_sub_i32 s2, s16, s12
	s_delay_alu instid0(SALU_CYCLE_1) | instskip(NEXT) | instid1(VALU_DEP_1)
	v_cmp_gt_u32_e64 s2, s2, v0
	s_or_b32 s4, s4, s2
	s_delay_alu instid0(SALU_CYCLE_1)
	s_and_saveexec_b32 s5, s4
	s_cbranch_execz .LBB19_26
; %bb.1:
	s_load_b256 s[4:11], s[0:1], 0x0
	s_mov_b32 s13, 0
	v_lshlrev_b32_e32 v1, 3, v0
	s_lshl_b64 s[0:1], s[12:13], 1
	v_lshlrev_b32_e32 v3, 1, v0
	v_add_nc_u32_e32 v5, s12, v0
	s_waitcnt lgkmcnt(0)
	s_add_u32 s0, s4, s0
	s_addc_u32 s1, s5, s1
	s_lshl_b64 s[18:19], s[12:13], 3
	s_delay_alu instid0(SALU_CYCLE_1) | instskip(SKIP_4) | instid1(SALU_CYCLE_1)
	s_add_u32 s8, s8, s18
	s_addc_u32 s9, s9, s19
	global_load_b64 v[1:2], v1, s[8:9]
	global_load_u16 v7, v3, s[0:1]
	s_lshr_b32 s0, s17, 8
	s_sub_i32 s1, 0, s0
	s_delay_alu instid0(SALU_CYCLE_1) | instskip(NEXT) | instid1(SALU_CYCLE_1)
	s_and_b32 s1, s15, s1
	s_and_b32 s0, s1, s0
	s_lshl_b32 s9, s1, 8
	s_sub_i32 s1, 0, s17
	s_cmp_eq_u32 s0, 0
	s_cselect_b32 s0, -1, 0
	s_delay_alu instid0(SALU_CYCLE_1) | instskip(SKIP_1) | instid1(SALU_CYCLE_1)
	s_and_b32 s8, s0, exec_lo
	s_cselect_b32 s1, s17, s1
	s_add_i32 s1, s1, s9
	s_delay_alu instid0(SALU_CYCLE_1)
	s_cmp_lt_u32 s1, s16
	s_cbranch_scc1 .LBB19_6
; %bb.2:
	s_and_b32 vcc_lo, exec_lo, s3
	s_cbranch_vccz .LBB19_7
; %bb.3:
	s_mov_b32 s8, 0
	s_mov_b32 s12, exec_lo
                                        ; implicit-def: $vgpr3_vgpr4
	v_cmpx_gt_u32_e64 s16, v5
	s_cbranch_execz .LBB19_5
; %bb.4:
	v_mov_b32_e32 v6, 0
	s_mov_b32 s13, exec_lo
	s_delay_alu instid0(VALU_DEP_1) | instskip(SKIP_1) | instid1(VALU_DEP_2)
	v_lshlrev_b64 v[3:4], 1, v[5:6]
	v_lshlrev_b64 v[8:9], 3, v[5:6]
	v_add_co_u32 v10, vcc_lo, s6, v3
	s_delay_alu instid0(VALU_DEP_3) | instskip(NEXT) | instid1(VALU_DEP_3)
	v_add_co_ci_u32_e32 v11, vcc_lo, s7, v4, vcc_lo
	v_add_co_u32 v3, vcc_lo, s10, v8
	s_delay_alu instid0(VALU_DEP_4)
	v_add_co_ci_u32_e32 v4, vcc_lo, s11, v9, vcc_lo
	s_waitcnt vmcnt(0)
	global_store_b16 v[10:11], v7, off
.LBB19_5:
	s_or_b32 exec_lo, exec_lo, s12
	s_delay_alu instid0(SALU_CYCLE_1)
	s_and_b32 vcc_lo, exec_lo, s8
	s_cbranch_vccnz .LBB19_8
	s_branch .LBB19_9
.LBB19_6:
                                        ; implicit-def: $vgpr3_vgpr4
	s_cbranch_execnz .LBB19_10
	s_branch .LBB19_24
.LBB19_7:
                                        ; implicit-def: $vgpr3_vgpr4
	s_cbranch_execz .LBB19_9
.LBB19_8:
	v_mov_b32_e32 v6, 0
	s_or_b32 s13, s13, exec_lo
	s_delay_alu instid0(VALU_DEP_1) | instskip(SKIP_1) | instid1(VALU_DEP_2)
	v_lshlrev_b64 v[3:4], 1, v[5:6]
	v_lshlrev_b64 v[8:9], 3, v[5:6]
	v_add_co_u32 v10, vcc_lo, s6, v3
	s_delay_alu instid0(VALU_DEP_3) | instskip(NEXT) | instid1(VALU_DEP_3)
	v_add_co_ci_u32_e32 v11, vcc_lo, s7, v4, vcc_lo
	v_add_co_u32 v3, vcc_lo, s10, v8
	s_delay_alu instid0(VALU_DEP_4)
	v_add_co_ci_u32_e32 v4, vcc_lo, s11, v9, vcc_lo
	s_waitcnt vmcnt(0)
	global_store_b16 v[10:11], v7, off
.LBB19_9:
	s_branch .LBB19_24
.LBB19_10:
	s_min_u32 s8, s1, s16
	s_and_b32 vcc_lo, exec_lo, s3
	s_add_i32 s12, s9, s8
	s_min_u32 s9, s9, s8
	v_subrev_nc_u32_e32 v0, s12, v5
	s_add_i32 s12, s8, s17
	s_delay_alu instid0(SALU_CYCLE_1) | instskip(NEXT) | instid1(VALU_DEP_1)
	s_min_u32 s3, s12, s16
	v_add_nc_u32_e32 v0, s9, v0
	s_cbranch_vccz .LBB19_18
; %bb.11:
                                        ; implicit-def: $vgpr3_vgpr4
	s_and_saveexec_b32 s9, s2
	s_cbranch_execz .LBB19_17
; %bb.12:
	v_mov_b32_e32 v3, s8
	s_cmp_ge_u32 s1, s3
	s_cbranch_scc1 .LBB19_16
; %bb.13:
	v_dual_mov_b32 v4, s3 :: v_dual_mov_b32 v3, s8
	s_mov_b32 s2, 0
	.p2align	6
.LBB19_14:                              ; =>This Inner Loop Header: Depth=1
	s_delay_alu instid0(VALU_DEP_1) | instskip(NEXT) | instid1(VALU_DEP_1)
	v_add_nc_u32_e32 v5, v3, v4
	v_and_b32_e32 v6, -2, v5
	v_lshrrev_b32_e32 v5, 1, v5
	global_load_u16 v6, v6, s[4:5]
	s_waitcnt vmcnt(0)
	v_cmp_gt_u16_e32 vcc_lo, v7, v6
	v_cndmask_b32_e64 v8, 0, 1, vcc_lo
	v_cmp_le_u16_e32 vcc_lo, v6, v7
	v_cndmask_b32_e64 v6, 0, 1, vcc_lo
	s_delay_alu instid0(VALU_DEP_1) | instskip(SKIP_1) | instid1(VALU_DEP_2)
	v_cndmask_b32_e64 v6, v6, v8, s0
	v_add_nc_u32_e32 v8, 1, v5
	v_and_b32_e32 v6, 1, v6
	s_delay_alu instid0(VALU_DEP_1) | instskip(NEXT) | instid1(VALU_DEP_3)
	v_cmp_eq_u32_e32 vcc_lo, 1, v6
	v_cndmask_b32_e32 v3, v3, v8, vcc_lo
	v_cndmask_b32_e32 v4, v5, v4, vcc_lo
	s_delay_alu instid0(VALU_DEP_1) | instskip(SKIP_1) | instid1(SALU_CYCLE_1)
	v_cmp_ge_u32_e32 vcc_lo, v3, v4
	s_or_b32 s2, vcc_lo, s2
	s_and_not1_b32 exec_lo, exec_lo, s2
	s_cbranch_execnz .LBB19_14
; %bb.15:
	s_or_b32 exec_lo, exec_lo, s2
.LBB19_16:
	s_delay_alu instid0(VALU_DEP_1) | instskip(SKIP_1) | instid1(VALU_DEP_1)
	v_dual_mov_b32 v4, 0 :: v_dual_add_nc_u32 v3, v3, v0
	s_or_b32 s13, s13, exec_lo
	v_lshlrev_b64 v[5:6], 1, v[3:4]
	v_lshlrev_b64 v[3:4], 3, v[3:4]
	s_delay_alu instid0(VALU_DEP_2) | instskip(NEXT) | instid1(VALU_DEP_3)
	v_add_co_u32 v5, vcc_lo, s6, v5
	v_add_co_ci_u32_e32 v6, vcc_lo, s7, v6, vcc_lo
	s_delay_alu instid0(VALU_DEP_3) | instskip(NEXT) | instid1(VALU_DEP_4)
	v_add_co_u32 v3, vcc_lo, s10, v3
	v_add_co_ci_u32_e32 v4, vcc_lo, s11, v4, vcc_lo
	s_waitcnt vmcnt(0)
	global_store_b16 v[5:6], v7, off
.LBB19_17:
	s_or_b32 exec_lo, exec_lo, s9
	s_branch .LBB19_24
.LBB19_18:
                                        ; implicit-def: $vgpr3_vgpr4
	s_cbranch_execz .LBB19_24
; %bb.19:
	v_mov_b32_e32 v3, s8
	s_cmp_ge_u32 s1, s3
	s_cbranch_scc1 .LBB19_23
; %bb.20:
	v_dual_mov_b32 v4, s3 :: v_dual_mov_b32 v3, s8
	s_mov_b32 s1, 0
	.p2align	6
.LBB19_21:                              ; =>This Inner Loop Header: Depth=1
	s_delay_alu instid0(VALU_DEP_1) | instskip(NEXT) | instid1(VALU_DEP_1)
	v_add_nc_u32_e32 v5, v3, v4
	v_and_b32_e32 v6, -2, v5
	v_lshrrev_b32_e32 v5, 1, v5
	global_load_u16 v6, v6, s[4:5]
	s_waitcnt vmcnt(0)
	v_cmp_gt_u16_e32 vcc_lo, v7, v6
	v_cndmask_b32_e64 v8, 0, 1, vcc_lo
	v_cmp_le_u16_e32 vcc_lo, v6, v7
	v_cndmask_b32_e64 v6, 0, 1, vcc_lo
	s_delay_alu instid0(VALU_DEP_1) | instskip(SKIP_1) | instid1(VALU_DEP_2)
	v_cndmask_b32_e64 v6, v6, v8, s0
	v_add_nc_u32_e32 v8, 1, v5
	v_and_b32_e32 v6, 1, v6
	s_delay_alu instid0(VALU_DEP_1) | instskip(NEXT) | instid1(VALU_DEP_3)
	v_cmp_eq_u32_e32 vcc_lo, 1, v6
	v_cndmask_b32_e32 v3, v3, v8, vcc_lo
	v_cndmask_b32_e32 v4, v5, v4, vcc_lo
	s_delay_alu instid0(VALU_DEP_1) | instskip(SKIP_1) | instid1(SALU_CYCLE_1)
	v_cmp_ge_u32_e32 vcc_lo, v3, v4
	s_or_b32 s1, vcc_lo, s1
	s_and_not1_b32 exec_lo, exec_lo, s1
	s_cbranch_execnz .LBB19_21
; %bb.22:
	s_or_b32 exec_lo, exec_lo, s1
.LBB19_23:
	s_delay_alu instid0(VALU_DEP_1) | instskip(SKIP_1) | instid1(VALU_DEP_1)
	v_dual_mov_b32 v4, 0 :: v_dual_add_nc_u32 v3, v3, v0
	s_mov_b32 s13, -1
	v_lshlrev_b64 v[5:6], 1, v[3:4]
	v_lshlrev_b64 v[3:4], 3, v[3:4]
	s_delay_alu instid0(VALU_DEP_2) | instskip(NEXT) | instid1(VALU_DEP_3)
	v_add_co_u32 v5, vcc_lo, s6, v5
	v_add_co_ci_u32_e32 v6, vcc_lo, s7, v6, vcc_lo
	s_delay_alu instid0(VALU_DEP_3) | instskip(NEXT) | instid1(VALU_DEP_4)
	v_add_co_u32 v3, vcc_lo, s10, v3
	v_add_co_ci_u32_e32 v4, vcc_lo, s11, v4, vcc_lo
	s_waitcnt vmcnt(0)
	global_store_b16 v[5:6], v7, off
.LBB19_24:
	s_and_b32 exec_lo, exec_lo, s13
	s_cbranch_execz .LBB19_26
; %bb.25:
	s_waitcnt vmcnt(1)
	global_store_b64 v[3:4], v[1:2], off
.LBB19_26:
	s_nop 0
	s_sendmsg sendmsg(MSG_DEALLOC_VGPRS)
	s_endpgm
	.section	.rodata,"a",@progbits
	.p2align	6, 0x0
	.amdhsa_kernel _ZN7rocprim17ROCPRIM_304000_NS6detail33device_block_merge_oddeven_kernelINS1_37wrapped_merge_sort_block_merge_configINS0_14default_configEtN2at4cuda3cub6detail10OpaqueTypeILi8EEEEEPtSC_PSA_SD_jNS1_19radix_merge_compareILb0ELb0EtNS0_19identity_decomposerEEEEEvT0_T1_T2_T3_T4_SL_T5_
		.amdhsa_group_segment_fixed_size 0
		.amdhsa_private_segment_fixed_size 0
		.amdhsa_kernarg_size 44
		.amdhsa_user_sgpr_count 15
		.amdhsa_user_sgpr_dispatch_ptr 0
		.amdhsa_user_sgpr_queue_ptr 0
		.amdhsa_user_sgpr_kernarg_segment_ptr 1
		.amdhsa_user_sgpr_dispatch_id 0
		.amdhsa_user_sgpr_private_segment_size 0
		.amdhsa_wavefront_size32 1
		.amdhsa_uses_dynamic_stack 0
		.amdhsa_enable_private_segment 0
		.amdhsa_system_sgpr_workgroup_id_x 1
		.amdhsa_system_sgpr_workgroup_id_y 0
		.amdhsa_system_sgpr_workgroup_id_z 0
		.amdhsa_system_sgpr_workgroup_info 0
		.amdhsa_system_vgpr_workitem_id 0
		.amdhsa_next_free_vgpr 12
		.amdhsa_next_free_sgpr 20
		.amdhsa_reserve_vcc 1
		.amdhsa_float_round_mode_32 0
		.amdhsa_float_round_mode_16_64 0
		.amdhsa_float_denorm_mode_32 3
		.amdhsa_float_denorm_mode_16_64 3
		.amdhsa_dx10_clamp 1
		.amdhsa_ieee_mode 1
		.amdhsa_fp16_overflow 0
		.amdhsa_workgroup_processor_mode 1
		.amdhsa_memory_ordered 1
		.amdhsa_forward_progress 0
		.amdhsa_shared_vgpr_count 0
		.amdhsa_exception_fp_ieee_invalid_op 0
		.amdhsa_exception_fp_denorm_src 0
		.amdhsa_exception_fp_ieee_div_zero 0
		.amdhsa_exception_fp_ieee_overflow 0
		.amdhsa_exception_fp_ieee_underflow 0
		.amdhsa_exception_fp_ieee_inexact 0
		.amdhsa_exception_int_div_zero 0
	.end_amdhsa_kernel
	.section	.text._ZN7rocprim17ROCPRIM_304000_NS6detail33device_block_merge_oddeven_kernelINS1_37wrapped_merge_sort_block_merge_configINS0_14default_configEtN2at4cuda3cub6detail10OpaqueTypeILi8EEEEEPtSC_PSA_SD_jNS1_19radix_merge_compareILb0ELb0EtNS0_19identity_decomposerEEEEEvT0_T1_T2_T3_T4_SL_T5_,"axG",@progbits,_ZN7rocprim17ROCPRIM_304000_NS6detail33device_block_merge_oddeven_kernelINS1_37wrapped_merge_sort_block_merge_configINS0_14default_configEtN2at4cuda3cub6detail10OpaqueTypeILi8EEEEEPtSC_PSA_SD_jNS1_19radix_merge_compareILb0ELb0EtNS0_19identity_decomposerEEEEEvT0_T1_T2_T3_T4_SL_T5_,comdat
.Lfunc_end19:
	.size	_ZN7rocprim17ROCPRIM_304000_NS6detail33device_block_merge_oddeven_kernelINS1_37wrapped_merge_sort_block_merge_configINS0_14default_configEtN2at4cuda3cub6detail10OpaqueTypeILi8EEEEEPtSC_PSA_SD_jNS1_19radix_merge_compareILb0ELb0EtNS0_19identity_decomposerEEEEEvT0_T1_T2_T3_T4_SL_T5_, .Lfunc_end19-_ZN7rocprim17ROCPRIM_304000_NS6detail33device_block_merge_oddeven_kernelINS1_37wrapped_merge_sort_block_merge_configINS0_14default_configEtN2at4cuda3cub6detail10OpaqueTypeILi8EEEEEPtSC_PSA_SD_jNS1_19radix_merge_compareILb0ELb0EtNS0_19identity_decomposerEEEEEvT0_T1_T2_T3_T4_SL_T5_
                                        ; -- End function
	.section	.AMDGPU.csdata,"",@progbits
; Kernel info:
; codeLenInByte = 932
; NumSgprs: 22
; NumVgprs: 12
; ScratchSize: 0
; MemoryBound: 0
; FloatMode: 240
; IeeeMode: 1
; LDSByteSize: 0 bytes/workgroup (compile time only)
; SGPRBlocks: 2
; VGPRBlocks: 1
; NumSGPRsForWavesPerEU: 22
; NumVGPRsForWavesPerEU: 12
; Occupancy: 16
; WaveLimiterHint : 0
; COMPUTE_PGM_RSRC2:SCRATCH_EN: 0
; COMPUTE_PGM_RSRC2:USER_SGPR: 15
; COMPUTE_PGM_RSRC2:TRAP_HANDLER: 0
; COMPUTE_PGM_RSRC2:TGID_X_EN: 1
; COMPUTE_PGM_RSRC2:TGID_Y_EN: 0
; COMPUTE_PGM_RSRC2:TGID_Z_EN: 0
; COMPUTE_PGM_RSRC2:TIDIG_COMP_CNT: 0
	.section	.text._ZN7rocprim17ROCPRIM_304000_NS6detail45device_block_merge_mergepath_partition_kernelINS1_37wrapped_merge_sort_block_merge_configINS0_14default_configEtN2at4cuda3cub6detail10OpaqueTypeILi8EEEEEPtjNS1_19radix_merge_compareILb0ELb1EtNS0_19identity_decomposerEEEEEvT0_T1_jPSH_T2_SH_,"axG",@progbits,_ZN7rocprim17ROCPRIM_304000_NS6detail45device_block_merge_mergepath_partition_kernelINS1_37wrapped_merge_sort_block_merge_configINS0_14default_configEtN2at4cuda3cub6detail10OpaqueTypeILi8EEEEEPtjNS1_19radix_merge_compareILb0ELb1EtNS0_19identity_decomposerEEEEEvT0_T1_jPSH_T2_SH_,comdat
	.protected	_ZN7rocprim17ROCPRIM_304000_NS6detail45device_block_merge_mergepath_partition_kernelINS1_37wrapped_merge_sort_block_merge_configINS0_14default_configEtN2at4cuda3cub6detail10OpaqueTypeILi8EEEEEPtjNS1_19radix_merge_compareILb0ELb1EtNS0_19identity_decomposerEEEEEvT0_T1_jPSH_T2_SH_ ; -- Begin function _ZN7rocprim17ROCPRIM_304000_NS6detail45device_block_merge_mergepath_partition_kernelINS1_37wrapped_merge_sort_block_merge_configINS0_14default_configEtN2at4cuda3cub6detail10OpaqueTypeILi8EEEEEPtjNS1_19radix_merge_compareILb0ELb1EtNS0_19identity_decomposerEEEEEvT0_T1_jPSH_T2_SH_
	.globl	_ZN7rocprim17ROCPRIM_304000_NS6detail45device_block_merge_mergepath_partition_kernelINS1_37wrapped_merge_sort_block_merge_configINS0_14default_configEtN2at4cuda3cub6detail10OpaqueTypeILi8EEEEEPtjNS1_19radix_merge_compareILb0ELb1EtNS0_19identity_decomposerEEEEEvT0_T1_jPSH_T2_SH_
	.p2align	8
	.type	_ZN7rocprim17ROCPRIM_304000_NS6detail45device_block_merge_mergepath_partition_kernelINS1_37wrapped_merge_sort_block_merge_configINS0_14default_configEtN2at4cuda3cub6detail10OpaqueTypeILi8EEEEEPtjNS1_19radix_merge_compareILb0ELb1EtNS0_19identity_decomposerEEEEEvT0_T1_jPSH_T2_SH_,@function
_ZN7rocprim17ROCPRIM_304000_NS6detail45device_block_merge_mergepath_partition_kernelINS1_37wrapped_merge_sort_block_merge_configINS0_14default_configEtN2at4cuda3cub6detail10OpaqueTypeILi8EEEEEPtjNS1_19radix_merge_compareILb0ELb1EtNS0_19identity_decomposerEEEEEvT0_T1_jPSH_T2_SH_: ; @_ZN7rocprim17ROCPRIM_304000_NS6detail45device_block_merge_mergepath_partition_kernelINS1_37wrapped_merge_sort_block_merge_configINS0_14default_configEtN2at4cuda3cub6detail10OpaqueTypeILi8EEEEEPtjNS1_19radix_merge_compareILb0ELb1EtNS0_19identity_decomposerEEEEEvT0_T1_jPSH_T2_SH_
; %bb.0:
	s_load_b64 s[4:5], s[0:1], 0x8
	v_lshl_or_b32 v0, s15, 7, v0
	s_mov_b32 s2, exec_lo
	s_waitcnt lgkmcnt(0)
	s_delay_alu instid0(VALU_DEP_1)
	v_cmpx_gt_u32_e64 s5, v0
	s_cbranch_execz .LBB20_6
; %bb.1:
	s_load_b64 s[2:3], s[0:1], 0x18
	s_waitcnt lgkmcnt(0)
	s_lshr_b32 s5, s3, 9
	s_delay_alu instid0(SALU_CYCLE_1) | instskip(NEXT) | instid1(SALU_CYCLE_1)
	s_and_b32 s5, s5, 0x7ffffe
	s_sub_i32 s6, 0, s5
	s_add_i32 s5, s5, -1
	v_and_b32_e32 v1, s6, v0
	v_and_b32_e32 v5, s5, v0
	s_delay_alu instid0(VALU_DEP_2) | instskip(NEXT) | instid1(VALU_DEP_1)
	v_lshlrev_b32_e32 v1, 10, v1
	v_add_nc_u32_e32 v2, s3, v1
	s_delay_alu instid0(VALU_DEP_1) | instskip(SKIP_1) | instid1(VALU_DEP_2)
	v_min_u32_e32 v4, s4, v2
	v_min_u32_e32 v2, s4, v1
	v_add_nc_u32_e32 v3, s3, v4
	s_mov_b32 s3, exec_lo
	s_delay_alu instid0(VALU_DEP_1) | instskip(SKIP_1) | instid1(VALU_DEP_2)
	v_min_u32_e32 v1, s4, v3
	v_lshlrev_b32_e32 v3, 10, v5
	v_sub_nc_u32_e32 v5, v1, v2
	v_sub_nc_u32_e32 v6, v1, v4
	s_delay_alu instid0(VALU_DEP_2) | instskip(SKIP_1) | instid1(VALU_DEP_2)
	v_min_u32_e32 v1, v5, v3
	v_sub_nc_u32_e32 v3, v4, v2
	v_sub_nc_u32_e64 v6, v1, v6 clamp
	s_delay_alu instid0(VALU_DEP_2) | instskip(NEXT) | instid1(VALU_DEP_1)
	v_min_u32_e32 v7, v1, v3
	v_cmpx_lt_u32_e64 v6, v7
	s_cbranch_execz .LBB20_5
; %bb.2:
	s_load_b64 s[4:5], s[0:1], 0x0
	v_mov_b32_e32 v5, 0
	s_delay_alu instid0(VALU_DEP_1) | instskip(SKIP_1) | instid1(VALU_DEP_2)
	v_mov_b32_e32 v3, v5
	v_lshlrev_b64 v[10:11], 1, v[4:5]
	v_lshlrev_b64 v[8:9], 1, v[2:3]
	s_waitcnt lgkmcnt(0)
	s_delay_alu instid0(VALU_DEP_1) | instskip(NEXT) | instid1(VALU_DEP_2)
	v_add_co_u32 v3, vcc_lo, s4, v8
	v_add_co_ci_u32_e32 v8, vcc_lo, s5, v9, vcc_lo
	s_delay_alu instid0(VALU_DEP_4)
	v_add_co_u32 v9, vcc_lo, s4, v10
	v_add_co_ci_u32_e32 v10, vcc_lo, s5, v11, vcc_lo
	s_mov_b32 s4, 0
	.p2align	6
.LBB20_3:                               ; =>This Inner Loop Header: Depth=1
	v_add_nc_u32_e32 v4, v7, v6
	s_delay_alu instid0(VALU_DEP_1) | instskip(SKIP_1) | instid1(VALU_DEP_2)
	v_lshrrev_b32_e32 v15, 1, v4
	v_and_b32_e32 v11, -2, v4
	v_xad_u32 v4, v15, -1, v1
	s_delay_alu instid0(VALU_DEP_2) | instskip(SKIP_1) | instid1(VALU_DEP_3)
	v_add_co_u32 v11, vcc_lo, v3, v11
	v_add_co_ci_u32_e32 v12, vcc_lo, 0, v8, vcc_lo
	v_lshlrev_b64 v[13:14], 1, v[4:5]
	s_delay_alu instid0(VALU_DEP_1) | instskip(NEXT) | instid1(VALU_DEP_2)
	v_add_co_u32 v13, vcc_lo, v9, v13
	v_add_co_ci_u32_e32 v14, vcc_lo, v10, v14, vcc_lo
	s_clause 0x1
	global_load_u16 v4, v[11:12], off
	global_load_u16 v11, v[13:14], off
	v_add_nc_u32_e32 v12, 1, v15
	s_waitcnt vmcnt(1)
	v_and_b32_e32 v4, s2, v4
	s_waitcnt vmcnt(0)
	v_and_b32_e32 v11, s2, v11
	s_delay_alu instid0(VALU_DEP_1) | instskip(SKIP_1) | instid1(VALU_DEP_1)
	v_cmp_gt_u16_e32 vcc_lo, v4, v11
	v_dual_cndmask_b32 v7, v7, v15 :: v_dual_cndmask_b32 v6, v12, v6
	v_cmp_ge_u32_e32 vcc_lo, v6, v7
	s_or_b32 s4, vcc_lo, s4
	s_delay_alu instid0(SALU_CYCLE_1)
	s_and_not1_b32 exec_lo, exec_lo, s4
	s_cbranch_execnz .LBB20_3
; %bb.4:
	s_or_b32 exec_lo, exec_lo, s4
.LBB20_5:
	s_delay_alu instid0(SALU_CYCLE_1) | instskip(SKIP_2) | instid1(VALU_DEP_1)
	s_or_b32 exec_lo, exec_lo, s3
	s_load_b64 s[0:1], s[0:1], 0x10
	v_dual_mov_b32 v1, 0 :: v_dual_add_nc_u32 v2, v6, v2
	v_lshlrev_b64 v[0:1], 2, v[0:1]
	s_waitcnt lgkmcnt(0)
	s_delay_alu instid0(VALU_DEP_1) | instskip(NEXT) | instid1(VALU_DEP_2)
	v_add_co_u32 v0, vcc_lo, s0, v0
	v_add_co_ci_u32_e32 v1, vcc_lo, s1, v1, vcc_lo
	global_store_b32 v[0:1], v2, off
.LBB20_6:
	s_nop 0
	s_sendmsg sendmsg(MSG_DEALLOC_VGPRS)
	s_endpgm
	.section	.rodata,"a",@progbits
	.p2align	6, 0x0
	.amdhsa_kernel _ZN7rocprim17ROCPRIM_304000_NS6detail45device_block_merge_mergepath_partition_kernelINS1_37wrapped_merge_sort_block_merge_configINS0_14default_configEtN2at4cuda3cub6detail10OpaqueTypeILi8EEEEEPtjNS1_19radix_merge_compareILb0ELb1EtNS0_19identity_decomposerEEEEEvT0_T1_jPSH_T2_SH_
		.amdhsa_group_segment_fixed_size 0
		.amdhsa_private_segment_fixed_size 0
		.amdhsa_kernarg_size 32
		.amdhsa_user_sgpr_count 15
		.amdhsa_user_sgpr_dispatch_ptr 0
		.amdhsa_user_sgpr_queue_ptr 0
		.amdhsa_user_sgpr_kernarg_segment_ptr 1
		.amdhsa_user_sgpr_dispatch_id 0
		.amdhsa_user_sgpr_private_segment_size 0
		.amdhsa_wavefront_size32 1
		.amdhsa_uses_dynamic_stack 0
		.amdhsa_enable_private_segment 0
		.amdhsa_system_sgpr_workgroup_id_x 1
		.amdhsa_system_sgpr_workgroup_id_y 0
		.amdhsa_system_sgpr_workgroup_id_z 0
		.amdhsa_system_sgpr_workgroup_info 0
		.amdhsa_system_vgpr_workitem_id 0
		.amdhsa_next_free_vgpr 16
		.amdhsa_next_free_sgpr 16
		.amdhsa_reserve_vcc 1
		.amdhsa_float_round_mode_32 0
		.amdhsa_float_round_mode_16_64 0
		.amdhsa_float_denorm_mode_32 3
		.amdhsa_float_denorm_mode_16_64 3
		.amdhsa_dx10_clamp 1
		.amdhsa_ieee_mode 1
		.amdhsa_fp16_overflow 0
		.amdhsa_workgroup_processor_mode 1
		.amdhsa_memory_ordered 1
		.amdhsa_forward_progress 0
		.amdhsa_shared_vgpr_count 0
		.amdhsa_exception_fp_ieee_invalid_op 0
		.amdhsa_exception_fp_denorm_src 0
		.amdhsa_exception_fp_ieee_div_zero 0
		.amdhsa_exception_fp_ieee_overflow 0
		.amdhsa_exception_fp_ieee_underflow 0
		.amdhsa_exception_fp_ieee_inexact 0
		.amdhsa_exception_int_div_zero 0
	.end_amdhsa_kernel
	.section	.text._ZN7rocprim17ROCPRIM_304000_NS6detail45device_block_merge_mergepath_partition_kernelINS1_37wrapped_merge_sort_block_merge_configINS0_14default_configEtN2at4cuda3cub6detail10OpaqueTypeILi8EEEEEPtjNS1_19radix_merge_compareILb0ELb1EtNS0_19identity_decomposerEEEEEvT0_T1_jPSH_T2_SH_,"axG",@progbits,_ZN7rocprim17ROCPRIM_304000_NS6detail45device_block_merge_mergepath_partition_kernelINS1_37wrapped_merge_sort_block_merge_configINS0_14default_configEtN2at4cuda3cub6detail10OpaqueTypeILi8EEEEEPtjNS1_19radix_merge_compareILb0ELb1EtNS0_19identity_decomposerEEEEEvT0_T1_jPSH_T2_SH_,comdat
.Lfunc_end20:
	.size	_ZN7rocprim17ROCPRIM_304000_NS6detail45device_block_merge_mergepath_partition_kernelINS1_37wrapped_merge_sort_block_merge_configINS0_14default_configEtN2at4cuda3cub6detail10OpaqueTypeILi8EEEEEPtjNS1_19radix_merge_compareILb0ELb1EtNS0_19identity_decomposerEEEEEvT0_T1_jPSH_T2_SH_, .Lfunc_end20-_ZN7rocprim17ROCPRIM_304000_NS6detail45device_block_merge_mergepath_partition_kernelINS1_37wrapped_merge_sort_block_merge_configINS0_14default_configEtN2at4cuda3cub6detail10OpaqueTypeILi8EEEEEPtjNS1_19radix_merge_compareILb0ELb1EtNS0_19identity_decomposerEEEEEvT0_T1_jPSH_T2_SH_
                                        ; -- End function
	.section	.AMDGPU.csdata,"",@progbits
; Kernel info:
; codeLenInByte = 468
; NumSgprs: 18
; NumVgprs: 16
; ScratchSize: 0
; MemoryBound: 0
; FloatMode: 240
; IeeeMode: 1
; LDSByteSize: 0 bytes/workgroup (compile time only)
; SGPRBlocks: 2
; VGPRBlocks: 1
; NumSGPRsForWavesPerEU: 18
; NumVGPRsForWavesPerEU: 16
; Occupancy: 16
; WaveLimiterHint : 0
; COMPUTE_PGM_RSRC2:SCRATCH_EN: 0
; COMPUTE_PGM_RSRC2:USER_SGPR: 15
; COMPUTE_PGM_RSRC2:TRAP_HANDLER: 0
; COMPUTE_PGM_RSRC2:TGID_X_EN: 1
; COMPUTE_PGM_RSRC2:TGID_Y_EN: 0
; COMPUTE_PGM_RSRC2:TGID_Z_EN: 0
; COMPUTE_PGM_RSRC2:TIDIG_COMP_CNT: 0
	.section	.text._ZN7rocprim17ROCPRIM_304000_NS6detail35device_block_merge_mergepath_kernelINS1_37wrapped_merge_sort_block_merge_configINS0_14default_configEtN2at4cuda3cub6detail10OpaqueTypeILi8EEEEEPtSC_PSA_SD_jNS1_19radix_merge_compareILb0ELb1EtNS0_19identity_decomposerEEEEEvT0_T1_T2_T3_T4_SL_jT5_PKSL_NS1_7vsmem_tE,"axG",@progbits,_ZN7rocprim17ROCPRIM_304000_NS6detail35device_block_merge_mergepath_kernelINS1_37wrapped_merge_sort_block_merge_configINS0_14default_configEtN2at4cuda3cub6detail10OpaqueTypeILi8EEEEEPtSC_PSA_SD_jNS1_19radix_merge_compareILb0ELb1EtNS0_19identity_decomposerEEEEEvT0_T1_T2_T3_T4_SL_jT5_PKSL_NS1_7vsmem_tE,comdat
	.protected	_ZN7rocprim17ROCPRIM_304000_NS6detail35device_block_merge_mergepath_kernelINS1_37wrapped_merge_sort_block_merge_configINS0_14default_configEtN2at4cuda3cub6detail10OpaqueTypeILi8EEEEEPtSC_PSA_SD_jNS1_19radix_merge_compareILb0ELb1EtNS0_19identity_decomposerEEEEEvT0_T1_T2_T3_T4_SL_jT5_PKSL_NS1_7vsmem_tE ; -- Begin function _ZN7rocprim17ROCPRIM_304000_NS6detail35device_block_merge_mergepath_kernelINS1_37wrapped_merge_sort_block_merge_configINS0_14default_configEtN2at4cuda3cub6detail10OpaqueTypeILi8EEEEEPtSC_PSA_SD_jNS1_19radix_merge_compareILb0ELb1EtNS0_19identity_decomposerEEEEEvT0_T1_T2_T3_T4_SL_jT5_PKSL_NS1_7vsmem_tE
	.globl	_ZN7rocprim17ROCPRIM_304000_NS6detail35device_block_merge_mergepath_kernelINS1_37wrapped_merge_sort_block_merge_configINS0_14default_configEtN2at4cuda3cub6detail10OpaqueTypeILi8EEEEEPtSC_PSA_SD_jNS1_19radix_merge_compareILb0ELb1EtNS0_19identity_decomposerEEEEEvT0_T1_T2_T3_T4_SL_jT5_PKSL_NS1_7vsmem_tE
	.p2align	8
	.type	_ZN7rocprim17ROCPRIM_304000_NS6detail35device_block_merge_mergepath_kernelINS1_37wrapped_merge_sort_block_merge_configINS0_14default_configEtN2at4cuda3cub6detail10OpaqueTypeILi8EEEEEPtSC_PSA_SD_jNS1_19radix_merge_compareILb0ELb1EtNS0_19identity_decomposerEEEEEvT0_T1_T2_T3_T4_SL_jT5_PKSL_NS1_7vsmem_tE,@function
_ZN7rocprim17ROCPRIM_304000_NS6detail35device_block_merge_mergepath_kernelINS1_37wrapped_merge_sort_block_merge_configINS0_14default_configEtN2at4cuda3cub6detail10OpaqueTypeILi8EEEEEPtSC_PSA_SD_jNS1_19radix_merge_compareILb0ELb1EtNS0_19identity_decomposerEEEEEvT0_T1_T2_T3_T4_SL_jT5_PKSL_NS1_7vsmem_tE: ; @_ZN7rocprim17ROCPRIM_304000_NS6detail35device_block_merge_mergepath_kernelINS1_37wrapped_merge_sort_block_merge_configINS0_14default_configEtN2at4cuda3cub6detail10OpaqueTypeILi8EEEEEPtSC_PSA_SD_jNS1_19radix_merge_compareILb0ELb1EtNS0_19identity_decomposerEEEEEvT0_T1_T2_T3_T4_SL_jT5_PKSL_NS1_7vsmem_tE
; %bb.0:
	s_clause 0x1
	s_load_b64 s[24:25], s[0:1], 0x40
	s_load_b128 s[16:19], s[0:1], 0x20
	s_add_u32 s22, s0, 64
	s_addc_u32 s23, s1, 0
	s_waitcnt lgkmcnt(0)
	s_mul_i32 s2, s25, s15
	s_delay_alu instid0(SALU_CYCLE_1) | instskip(NEXT) | instid1(SALU_CYCLE_1)
	s_add_i32 s2, s2, s14
	s_mul_i32 s2, s2, s24
	s_delay_alu instid0(SALU_CYCLE_1) | instskip(NEXT) | instid1(SALU_CYCLE_1)
	s_add_i32 s2, s2, s13
	s_cmp_ge_u32 s2, s18
	s_cbranch_scc1 .LBB21_53
; %bb.1:
	s_load_b64 s[4:5], s[0:1], 0x30
	s_lshr_b32 s30, s16, 10
	s_mov_b32 s15, 0
	s_cmp_lg_u32 s2, s30
	s_mov_b32 s3, s15
	s_cselect_b32 s18, -1, 0
	s_lshl_b64 s[6:7], s[2:3], 2
	v_mov_b32_e32 v4, 0
	s_mov_b32 s21, s15
	v_lshlrev_b32_e32 v5, 1, v0
	s_waitcnt lgkmcnt(0)
	s_add_u32 s4, s4, s6
	s_addc_u32 s5, s5, s7
	s_lshl_b32 s12, s2, 10
	s_load_b64 s[26:27], s[4:5], 0x0
	s_load_b256 s[4:11], s[0:1], 0x0
	global_load_b32 v1, v4, s[22:23] offset:14
	s_lshr_b32 s0, s17, 9
	s_delay_alu instid0(SALU_CYCLE_1) | instskip(NEXT) | instid1(SALU_CYCLE_1)
	s_and_b32 s0, s0, 0x7ffffe
	s_sub_i32 s0, 0, s0
	s_delay_alu instid0(SALU_CYCLE_1)
	s_and_b32 s1, s2, s0
	s_or_b32 s0, s2, s0
	s_lshl_b32 s3, s1, 11
	s_lshl_b32 s1, s1, 10
	s_add_i32 s3, s3, s17
	s_sub_i32 s14, s12, s1
	s_sub_i32 s1, s3, s1
	s_add_i32 s3, s3, s14
	s_min_u32 s25, s16, s1
	s_add_i32 s1, s1, s17
	s_waitcnt lgkmcnt(0)
	s_sub_i32 s14, s3, s26
	s_sub_i32 s3, s3, s27
	s_min_u32 s20, s16, s14
	s_addk_i32 s3, 0x400
	s_cmp_eq_u32 s0, -1
	s_mov_b32 s14, s26
	s_cselect_b32 s3, s1, s3
	s_cselect_b32 s17, s25, s27
	s_min_u32 s3, s3, s16
	s_lshl_b64 s[0:1], s[14:15], 1
	s_sub_i32 s17, s17, s26
	s_sub_i32 s25, s3, s20
	s_add_u32 s26, s4, s0
	s_addc_u32 s27, s5, s1
	s_lshl_b64 s[28:29], s[20:21], 1
	v_cmp_gt_u32_e32 vcc_lo, s17, v0
	s_add_u32 s1, s4, s28
	s_addc_u32 s4, s5, s29
	s_cmp_lt_u32 s13, s24
	s_cselect_b32 s0, 12, 18
	s_delay_alu instid0(SALU_CYCLE_1)
	s_add_u32 s22, s22, s0
	s_addc_u32 s23, s23, 0
	s_cmp_eq_u32 s2, s30
	s_mov_b32 s0, -1
	s_waitcnt vmcnt(0)
	v_lshrrev_b32_e32 v3, 16, v1
	v_and_b32_e32 v1, 0xffff, v1
	global_load_u16 v2, v4, s[22:23]
	v_mul_lo_u32 v1, v1, v3
	s_waitcnt vmcnt(0)
	s_delay_alu instid0(VALU_DEP_1) | instskip(NEXT) | instid1(VALU_DEP_1)
	v_mul_lo_u32 v1, v1, v2
	v_add_nc_u32_e32 v1, v1, v0
	s_cbranch_scc1 .LBB21_3
; %bb.2:
	v_subrev_nc_u32_e32 v3, s17, v0
	v_add_co_u32 v6, s0, s26, v5
	s_delay_alu instid0(VALU_DEP_1) | instskip(NEXT) | instid1(VALU_DEP_3)
	v_add_co_ci_u32_e64 v7, null, s27, 0, s0
	v_lshlrev_b64 v[2:3], 1, v[3:4]
	s_add_i32 s3, s25, s17
	s_delay_alu instid0(VALU_DEP_1) | instskip(NEXT) | instid1(VALU_DEP_1)
	v_add_co_u32 v2, s0, s1, v2
	v_add_co_ci_u32_e64 v3, s0, s4, v3, s0
	s_mov_b32 s0, s15
	s_delay_alu instid0(VALU_DEP_1) | instskip(SKIP_3) | instid1(VALU_DEP_2)
	v_dual_cndmask_b32 v2, v2, v6 :: v_dual_cndmask_b32 v3, v3, v7
	global_load_u16 v6, v[2:3], off
	v_mov_b32_e32 v2, v4
	v_subrev_nc_u32_e32 v3, s17, v1
	v_lshlrev_b64 v[7:8], 1, v[1:2]
	s_delay_alu instid0(VALU_DEP_2) | instskip(NEXT) | instid1(VALU_DEP_2)
	v_lshlrev_b64 v[2:3], 1, v[3:4]
	v_add_co_u32 v4, vcc_lo, s26, v7
	s_delay_alu instid0(VALU_DEP_3) | instskip(NEXT) | instid1(VALU_DEP_3)
	v_add_co_ci_u32_e32 v7, vcc_lo, s27, v8, vcc_lo
	v_add_co_u32 v2, vcc_lo, s1, v2
	s_delay_alu instid0(VALU_DEP_4) | instskip(SKIP_1) | instid1(VALU_DEP_2)
	v_add_co_ci_u32_e32 v3, vcc_lo, s4, v3, vcc_lo
	v_cmp_gt_u32_e32 vcc_lo, s17, v1
	v_dual_cndmask_b32 v3, v3, v7 :: v_dual_cndmask_b32 v2, v2, v4
	global_load_d16_hi_b16 v6, v[2:3], off
	s_and_not1_b32 vcc_lo, exec_lo, s0
	s_cbranch_vccz .LBB21_4
	s_branch .LBB21_9
.LBB21_3:
                                        ; implicit-def: $vgpr6
                                        ; implicit-def: $sgpr3
	s_and_not1_b32 vcc_lo, exec_lo, s0
	s_cbranch_vccnz .LBB21_9
.LBB21_4:
	s_add_i32 s3, s25, s17
	s_mov_b32 s0, exec_lo
                                        ; implicit-def: $vgpr6
	v_cmpx_gt_u32_e64 s3, v0
	s_cbranch_execz .LBB21_6
; %bb.5:
	v_subrev_nc_u32_e32 v2, s17, v0
	v_add_co_u32 v4, s2, s26, v5
	v_mov_b32_e32 v3, 0
	s_waitcnt vmcnt(0)
	v_add_co_ci_u32_e64 v6, null, s27, 0, s2
	s_delay_alu instid0(VALU_DEP_2) | instskip(NEXT) | instid1(VALU_DEP_1)
	v_lshlrev_b64 v[2:3], 1, v[2:3]
	v_add_co_u32 v2, vcc_lo, s1, v2
	s_delay_alu instid0(VALU_DEP_2) | instskip(SKIP_1) | instid1(VALU_DEP_2)
	v_add_co_ci_u32_e32 v3, vcc_lo, s4, v3, vcc_lo
	v_cmp_gt_u32_e32 vcc_lo, s17, v0
	v_dual_cndmask_b32 v2, v2, v4 :: v_dual_cndmask_b32 v3, v3, v6
	global_load_d16_b16 v6, v[2:3], off
.LBB21_6:
	s_or_b32 exec_lo, exec_lo, s0
	s_delay_alu instid0(SALU_CYCLE_1)
	s_mov_b32 s2, exec_lo
	v_cmpx_gt_u32_e64 s3, v1
	s_cbranch_execz .LBB21_8
; %bb.7:
	v_mov_b32_e32 v2, 0
	s_delay_alu instid0(VALU_DEP_1) | instskip(NEXT) | instid1(VALU_DEP_1)
	v_lshlrev_b64 v[3:4], 1, v[1:2]
	v_add_co_u32 v3, vcc_lo, s26, v3
	s_delay_alu instid0(VALU_DEP_2) | instskip(SKIP_2) | instid1(VALU_DEP_1)
	v_add_co_ci_u32_e32 v4, vcc_lo, s27, v4, vcc_lo
	v_cmp_gt_u32_e32 vcc_lo, s17, v1
	v_subrev_nc_u32_e32 v1, s17, v1
	v_lshlrev_b64 v[1:2], 1, v[1:2]
	s_delay_alu instid0(VALU_DEP_1) | instskip(NEXT) | instid1(VALU_DEP_1)
	v_add_co_u32 v1, s0, s1, v1
	v_add_co_ci_u32_e64 v2, s0, s4, v2, s0
	s_delay_alu instid0(VALU_DEP_1)
	v_dual_cndmask_b32 v1, v1, v3 :: v_dual_cndmask_b32 v2, v2, v4
	global_load_d16_hi_b16 v6, v[1:2], off
.LBB21_8:
	s_or_b32 exec_lo, exec_lo, s2
.LBB21_9:
	v_min_u32_e32 v2, s3, v5
	s_mov_b32 s0, exec_lo
	s_waitcnt vmcnt(0)
	ds_store_b16 v5, v6
	ds_store_b16_d16_hi v5, v6 offset:1024
	s_waitcnt lgkmcnt(0)
	s_barrier
	v_sub_nc_u32_e64 v1, v2, s25 clamp
	v_min_u32_e32 v3, s17, v2
	buffer_gl0_inv
	v_cmpx_lt_u32_e64 v1, v3
	s_cbranch_execz .LBB21_13
; %bb.10:
	v_lshlrev_b32_e32 v4, 1, v2
	s_mov_b32 s1, 0
	s_delay_alu instid0(VALU_DEP_1)
	v_lshl_add_u32 v4, s17, 1, v4
	.p2align	6
.LBB21_11:                              ; =>This Inner Loop Header: Depth=1
	v_add_nc_u32_e32 v7, v3, v1
	s_delay_alu instid0(VALU_DEP_1) | instskip(SKIP_1) | instid1(VALU_DEP_2)
	v_lshrrev_b32_e32 v8, 1, v7
	v_and_b32_e32 v7, -2, v7
	v_not_b32_e32 v9, v8
	v_add_nc_u32_e32 v10, 1, v8
	s_delay_alu instid0(VALU_DEP_2)
	v_lshl_add_u32 v9, v9, 1, v4
	ds_load_u16 v7, v7
	ds_load_u16 v9, v9
	s_waitcnt lgkmcnt(1)
	v_and_b32_e32 v7, s19, v7
	s_waitcnt lgkmcnt(0)
	v_and_b32_e32 v9, s19, v9
	s_delay_alu instid0(VALU_DEP_1) | instskip(SKIP_2) | instid1(VALU_DEP_1)
	v_cmp_gt_u16_e32 vcc_lo, v7, v9
	v_cndmask_b32_e32 v3, v3, v8, vcc_lo
	v_cndmask_b32_e32 v1, v10, v1, vcc_lo
	v_cmp_ge_u32_e32 vcc_lo, v1, v3
	s_or_b32 s1, vcc_lo, s1
	s_delay_alu instid0(SALU_CYCLE_1)
	s_and_not1_b32 exec_lo, exec_lo, s1
	s_cbranch_execnz .LBB21_11
; %bb.12:
	s_or_b32 exec_lo, exec_lo, s1
.LBB21_13:
	s_delay_alu instid0(SALU_CYCLE_1) | instskip(SKIP_2) | instid1(VALU_DEP_2)
	s_or_b32 exec_lo, exec_lo, s0
	v_sub_nc_u32_e32 v2, v2, v1
	v_cmp_ge_u32_e32 vcc_lo, s17, v1
                                        ; implicit-def: $vgpr8
                                        ; implicit-def: $vgpr9
	v_add_nc_u32_e32 v2, s17, v2
	s_delay_alu instid0(VALU_DEP_1) | instskip(NEXT) | instid1(VALU_DEP_1)
	v_cmp_ge_u32_e64 s0, s3, v2
	s_or_b32 s0, vcc_lo, s0
	s_delay_alu instid0(SALU_CYCLE_1)
	s_and_saveexec_b32 s4, s0
	s_cbranch_execz .LBB21_19
; %bb.14:
	v_cmp_gt_u32_e32 vcc_lo, s17, v1
                                        ; implicit-def: $vgpr3
	s_and_saveexec_b32 s0, vcc_lo
	s_cbranch_execz .LBB21_16
; %bb.15:
	v_lshlrev_b32_e32 v3, 1, v1
	ds_load_u16 v3, v3
.LBB21_16:
	s_or_b32 exec_lo, exec_lo, s0
	v_cmp_le_u32_e64 s0, s3, v2
	s_mov_b32 s2, exec_lo
                                        ; implicit-def: $vgpr4
	v_cmpx_gt_u32_e64 s3, v2
	s_cbranch_execz .LBB21_18
; %bb.17:
	v_lshlrev_b32_e32 v4, 1, v2
	ds_load_u16 v4, v4
.LBB21_18:
	s_or_b32 exec_lo, exec_lo, s2
	s_waitcnt lgkmcnt(0)
	v_and_b32_e32 v6, s19, v4
	v_and_b32_e32 v7, s19, v3
	s_delay_alu instid0(VALU_DEP_1) | instskip(SKIP_1) | instid1(VALU_DEP_2)
	v_cmp_le_u16_e64 s1, v7, v6
	v_mov_b32_e32 v6, s17
	s_and_b32 s1, vcc_lo, s1
	s_delay_alu instid0(SALU_CYCLE_1) | instskip(SKIP_1) | instid1(VALU_DEP_1)
	s_or_b32 vcc_lo, s0, s1
	v_cndmask_b32_e32 v9, v2, v1, vcc_lo
	v_dual_cndmask_b32 v6, s3, v6 :: v_dual_add_nc_u32 v7, 1, v9
	s_delay_alu instid0(VALU_DEP_1) | instskip(NEXT) | instid1(VALU_DEP_1)
	v_dual_cndmask_b32 v1, v1, v7 :: v_dual_add_nc_u32 v6, -1, v6
	v_min_u32_e32 v6, v7, v6
	v_cndmask_b32_e32 v2, v7, v2, vcc_lo
	s_delay_alu instid0(VALU_DEP_3) | instskip(NEXT) | instid1(VALU_DEP_3)
	v_cmp_gt_u32_e64 s0, s17, v1
	v_lshlrev_b32_e32 v6, 1, v6
	s_delay_alu instid0(VALU_DEP_3) | instskip(SKIP_4) | instid1(VALU_DEP_1)
	v_cmp_le_u32_e64 s2, s3, v2
	ds_load_u16 v6, v6
	s_waitcnt lgkmcnt(0)
	v_cndmask_b32_e32 v10, v6, v4, vcc_lo
	v_dual_cndmask_b32 v6, v3, v6 :: v_dual_cndmask_b32 v3, v4, v3
	v_and_b32_e32 v11, s19, v6
	s_delay_alu instid0(VALU_DEP_3) | instskip(NEXT) | instid1(VALU_DEP_1)
	v_and_b32_e32 v8, s19, v10
	v_cmp_le_u16_e64 s1, v11, v8
	s_delay_alu instid0(VALU_DEP_1) | instskip(NEXT) | instid1(SALU_CYCLE_1)
	s_and_b32 s0, s0, s1
	s_or_b32 vcc_lo, s2, s0
	v_cndmask_b32_e32 v8, v2, v1, vcc_lo
	v_cndmask_b32_e32 v1, v10, v6, vcc_lo
	s_delay_alu instid0(VALU_DEP_1)
	v_perm_b32 v6, v1, v3, 0x5040100
.LBB21_19:
	s_or_b32 exec_lo, exec_lo, s4
	s_lshl_b64 s[0:1], s[14:15], 3
	v_or_b32_e32 v7, 0x200, v0
	s_add_u32 s2, s8, s0
	s_addc_u32 s4, s9, s1
	s_lshl_b64 s[14:15], s[20:21], 3
	v_cmp_gt_u32_e64 s1, s17, v0
	v_cmp_le_u32_e64 s0, s17, v0
	s_add_u32 s8, s8, s14
	s_mov_b32 s5, 0
	s_addc_u32 s9, s9, s15
	s_and_not1_b32 vcc_lo, exec_lo, s18
	s_barrier
	buffer_gl0_inv
	s_cbranch_vccnz .LBB21_21
; %bb.20:
	v_subrev_nc_u32_e32 v1, s17, v0
	v_mov_b32_e32 v2, 0
	v_lshlrev_b32_e32 v12, 3, v0
	s_delay_alu instid0(VALU_DEP_2) | instskip(NEXT) | instid1(VALU_DEP_2)
	v_lshlrev_b64 v[3:4], 3, v[1:2]
	v_add_co_u32 v13, s5, s2, v12
	s_delay_alu instid0(VALU_DEP_1) | instskip(SKIP_1) | instid1(VALU_DEP_3)
	v_add_co_ci_u32_e64 v14, null, s4, 0, s5
	s_mov_b32 s5, -1
	v_add_co_u32 v1, vcc_lo, s8, v3
	s_delay_alu instid0(VALU_DEP_4) | instskip(NEXT) | instid1(VALU_DEP_1)
	v_add_co_ci_u32_e32 v3, vcc_lo, s9, v4, vcc_lo
	v_cndmask_b32_e64 v4, v3, v14, s1
	s_delay_alu instid0(VALU_DEP_3)
	v_cndmask_b32_e64 v3, v1, v13, s1
	v_subrev_nc_u32_e32 v1, s17, v7
	global_load_b64 v[10:11], v[3:4], off
	v_lshlrev_b64 v[1:2], 3, v[1:2]
	v_add_co_u32 v3, vcc_lo, 0x1000, v13
	v_add_co_ci_u32_e32 v4, vcc_lo, 0, v14, vcc_lo
	s_delay_alu instid0(VALU_DEP_3) | instskip(NEXT) | instid1(VALU_DEP_4)
	v_add_co_u32 v1, vcc_lo, s8, v1
	v_add_co_ci_u32_e32 v2, vcc_lo, s9, v2, vcc_lo
	v_cmp_gt_u32_e32 vcc_lo, s17, v7
	s_delay_alu instid0(VALU_DEP_2)
	v_dual_cndmask_b32 v1, v1, v3 :: v_dual_cndmask_b32 v2, v2, v4
	v_or_b32_e32 v4, 0x1000, v12
	s_waitcnt vmcnt(0)
	ds_store_b64 v12, v[10:11]
	s_cbranch_execz .LBB21_22
	s_branch .LBB21_33
.LBB21_21:
                                        ; implicit-def: $vgpr4
                                        ; implicit-def: $vgpr1_vgpr2
.LBB21_22:
	s_mov_b32 s1, 0
                                        ; implicit-def: $vgpr1_vgpr2
	s_and_saveexec_b32 s13, s0
	s_delay_alu instid0(SALU_CYCLE_1)
	s_xor_b32 s0, exec_lo, s13
	s_cbranch_execnz .LBB21_54
; %bb.23:
	s_and_not1_saveexec_b32 s0, s0
	s_cbranch_execnz .LBB21_57
.LBB21_24:
	s_or_b32 exec_lo, exec_lo, s0
	s_and_saveexec_b32 s0, s1
	s_cbranch_execz .LBB21_26
.LBB21_25:
	global_load_b64 v[1:2], v[1:2], off
	v_mad_u32_u24 v3, v0, 6, v5
	s_waitcnt vmcnt(0)
	ds_store_b64 v3, v[1:2]
.LBB21_26:
	s_or_b32 exec_lo, exec_lo, s0
	s_delay_alu instid0(SALU_CYCLE_1)
	s_mov_b32 s0, exec_lo
                                        ; implicit-def: $vgpr4
                                        ; implicit-def: $vgpr1_vgpr2
	v_cmpx_le_u32_e64 s17, v7
	s_xor_b32 s0, exec_lo, s0
	s_cbranch_execz .LBB21_30
; %bb.27:
	v_subrev_nc_u32_e32 v3, s17, v7
	s_mov_b32 s13, s5
	s_mov_b32 s1, exec_lo
                                        ; implicit-def: $vgpr4
                                        ; implicit-def: $vgpr1_vgpr2
	s_delay_alu instid0(VALU_DEP_1)
	v_cmpx_gt_u32_e64 s25, v3
; %bb.28:
	v_mov_b32_e32 v4, 0
	v_mul_u32_u24_e32 v10, 6, v0
	s_or_b32 s13, s5, exec_lo
	s_delay_alu instid0(VALU_DEP_2) | instskip(NEXT) | instid1(VALU_DEP_2)
	v_lshlrev_b64 v[1:2], 3, v[3:4]
	v_add3_u32 v4, v5, v10, 0x1000
	s_delay_alu instid0(VALU_DEP_2) | instskip(NEXT) | instid1(VALU_DEP_3)
	v_add_co_u32 v1, vcc_lo, s8, v1
	v_add_co_ci_u32_e32 v2, vcc_lo, s9, v2, vcc_lo
; %bb.29:
	s_or_b32 exec_lo, exec_lo, s1
	s_delay_alu instid0(SALU_CYCLE_1) | instskip(SKIP_1) | instid1(SALU_CYCLE_1)
	s_and_not1_b32 s1, s5, exec_lo
	s_and_b32 s5, s13, exec_lo
	s_or_b32 s5, s1, s5
.LBB21_30:
	s_and_not1_saveexec_b32 s0, s0
; %bb.31:
	v_lshlrev_b32_e32 v1, 3, v7
	v_mul_u32_u24_e32 v3, 6, v0
	s_or_b32 s5, s5, exec_lo
	s_delay_alu instid0(VALU_DEP_2) | instskip(NEXT) | instid1(VALU_DEP_1)
	v_add_co_u32 v1, s1, s2, v1
	v_add_co_ci_u32_e64 v2, null, s4, 0, s1
	s_delay_alu instid0(VALU_DEP_3)
	v_add3_u32 v4, v5, v3, 0x1000
; %bb.32:
	s_or_b32 exec_lo, exec_lo, s0
.LBB21_33:
	s_and_saveexec_b32 s0, s5
	s_cbranch_execz .LBB21_35
; %bb.34:
	global_load_b64 v[1:2], v[1:2], off
	s_waitcnt vmcnt(0)
	ds_store_b64 v4, v[1:2]
.LBB21_35:
	s_or_b32 exec_lo, exec_lo, s0
	v_add_nc_u32_e32 v1, s12, v5
	s_and_not1_b32 vcc_lo, exec_lo, s18
	s_waitcnt lgkmcnt(0)
	s_barrier
	buffer_gl0_inv
	s_cbranch_vccnz .LBB21_37
; %bb.36:
	v_lshlrev_b32_e32 v2, 3, v9
	s_mov_b32 s0, -1
	ds_load_b64 v[3:4], v2
	v_mov_b32_e32 v2, 0
	s_delay_alu instid0(VALU_DEP_1) | instskip(NEXT) | instid1(VALU_DEP_1)
	v_lshlrev_b64 v[10:11], 3, v[1:2]
	v_add_co_u32 v10, vcc_lo, s10, v10
	s_delay_alu instid0(VALU_DEP_2)
	v_add_co_ci_u32_e32 v11, vcc_lo, s11, v11, vcc_lo
	s_waitcnt lgkmcnt(0)
	global_store_b64 v[10:11], v[3:4], off
	s_cbranch_execz .LBB21_38
	s_branch .LBB21_43
.LBB21_37:
	s_mov_b32 s0, 0
.LBB21_38:
	s_mov_b32 s1, exec_lo
	v_cmpx_gt_u32_e64 s3, v5
	s_cbranch_execz .LBB21_40
; %bb.39:
	v_lshlrev_b32_e32 v2, 3, v9
	ds_load_b64 v[3:4], v2
	v_mov_b32_e32 v2, 0
	s_delay_alu instid0(VALU_DEP_1) | instskip(NEXT) | instid1(VALU_DEP_1)
	v_lshlrev_b64 v[9:10], 3, v[1:2]
	v_add_co_u32 v9, vcc_lo, s10, v9
	s_delay_alu instid0(VALU_DEP_2)
	v_add_co_ci_u32_e32 v10, vcc_lo, s11, v10, vcc_lo
	s_waitcnt lgkmcnt(0)
	global_store_b64 v[9:10], v[3:4], off
.LBB21_40:
	s_or_b32 exec_lo, exec_lo, s1
	v_or_b32_e32 v2, 1, v5
	s_mov_b32 s1, exec_lo
	s_delay_alu instid0(VALU_DEP_1)
	v_cmpx_gt_u32_e64 s3, v2
; %bb.41:
	v_mov_b32_e32 v2, 0
	s_or_b32 s0, s0, exec_lo
; %bb.42:
	s_or_b32 exec_lo, exec_lo, s1
.LBB21_43:
	s_and_saveexec_b32 s1, s0
	s_cbranch_execz .LBB21_45
; %bb.44:
	v_lshlrev_b32_e32 v3, 3, v8
	v_lshlrev_b64 v[1:2], 3, v[1:2]
	ds_load_b64 v[3:4], v3
	v_add_co_u32 v1, vcc_lo, s10, v1
	v_add_co_ci_u32_e32 v2, vcc_lo, s11, v2, vcc_lo
	s_waitcnt lgkmcnt(0)
	global_store_b64 v[1:2], v[3:4], off offset:8
.LBB21_45:
	s_or_b32 exec_lo, exec_lo, s1
	v_lshrrev_b32_e32 v1, 3, v0
	v_lshrrev_b32_e32 v2, 4, v0
	;; [unrolled: 1-line block ×3, first 2 shown]
	s_mov_b32 s13, 0
	s_waitcnt_vscnt null, 0x0
	v_and_b32_e32 v1, 60, v1
	s_lshl_b64 s[0:1], s[12:13], 1
	v_and_b32_e32 v2, 28, v2
	v_and_b32_e32 v4, 60, v3
	s_add_u32 s0, s6, s0
	v_lshl_add_u32 v1, v5, 1, v1
	s_barrier
	buffer_gl0_inv
	s_barrier
	buffer_gl0_inv
	s_addc_u32 s1, s7, s1
	ds_store_b32 v1, v6
	v_add_co_u32 v1, s0, s0, v5
	v_add_nc_u32_e32 v3, v5, v2
	v_add_nc_u32_e32 v6, v5, v4
	v_add_co_ci_u32_e64 v2, null, s1, 0, s0
	s_and_b32 vcc_lo, exec_lo, s18
	s_waitcnt lgkmcnt(0)
	s_cbranch_vccz .LBB21_47
; %bb.46:
	s_barrier
	buffer_gl0_inv
	ds_load_u16 v5, v3
	ds_load_u16 v4, v6 offset:1024
	s_mov_b32 s13, -1
	s_waitcnt lgkmcnt(1)
	global_store_b16 v[1:2], v5, off
	s_cbranch_execz .LBB21_48
	s_branch .LBB21_51
.LBB21_47:
                                        ; implicit-def: $vgpr4
.LBB21_48:
	s_waitcnt lgkmcnt(0)
	s_waitcnt_vscnt null, 0x0
	s_barrier
	buffer_gl0_inv
	ds_load_u16 v4, v6 offset:1024
	s_sub_i32 s0, s16, s12
	s_mov_b32 s1, exec_lo
	v_cmpx_gt_u32_e64 s0, v0
	s_cbranch_execz .LBB21_50
; %bb.49:
	ds_load_u16 v0, v3
	s_waitcnt lgkmcnt(0)
	global_store_b16 v[1:2], v0, off
.LBB21_50:
	s_or_b32 exec_lo, exec_lo, s1
	v_cmp_gt_u32_e64 s13, s0, v7
.LBB21_51:
	s_delay_alu instid0(VALU_DEP_1)
	s_and_saveexec_b32 s0, s13
	s_cbranch_execz .LBB21_53
; %bb.52:
	s_waitcnt lgkmcnt(0)
	global_store_b16 v[1:2], v4, off offset:1024
.LBB21_53:
	s_nop 0
	s_sendmsg sendmsg(MSG_DEALLOC_VGPRS)
	s_endpgm
.LBB21_54:
	v_subrev_nc_u32_e32 v3, s17, v0
	s_mov_b32 s13, exec_lo
                                        ; implicit-def: $vgpr1_vgpr2
	s_delay_alu instid0(VALU_DEP_1)
	v_cmpx_gt_u32_e64 s25, v3
	s_xor_b32 s13, exec_lo, s13
; %bb.55:
	v_mov_b32_e32 v4, 0
	s_mov_b32 s1, exec_lo
	s_delay_alu instid0(VALU_DEP_1) | instskip(NEXT) | instid1(VALU_DEP_1)
	v_lshlrev_b64 v[1:2], 3, v[3:4]
	v_add_co_u32 v1, vcc_lo, s8, v1
	s_delay_alu instid0(VALU_DEP_2)
	v_add_co_ci_u32_e32 v2, vcc_lo, s9, v2, vcc_lo
; %bb.56:
	s_or_b32 exec_lo, exec_lo, s13
	s_delay_alu instid0(SALU_CYCLE_1)
	s_and_b32 s1, s1, exec_lo
	s_and_not1_saveexec_b32 s0, s0
	s_cbranch_execz .LBB21_24
.LBB21_57:
	v_lshlrev_b32_e32 v1, 3, v0
	s_or_b32 s1, s1, exec_lo
	s_delay_alu instid0(VALU_DEP_1) | instskip(NEXT) | instid1(VALU_DEP_1)
	v_add_co_u32 v1, s13, s2, v1
	v_add_co_ci_u32_e64 v2, null, s4, 0, s13
	s_or_b32 exec_lo, exec_lo, s0
	s_and_saveexec_b32 s0, s1
	s_cbranch_execnz .LBB21_25
	s_branch .LBB21_26
	.section	.rodata,"a",@progbits
	.p2align	6, 0x0
	.amdhsa_kernel _ZN7rocprim17ROCPRIM_304000_NS6detail35device_block_merge_mergepath_kernelINS1_37wrapped_merge_sort_block_merge_configINS0_14default_configEtN2at4cuda3cub6detail10OpaqueTypeILi8EEEEEPtSC_PSA_SD_jNS1_19radix_merge_compareILb0ELb1EtNS0_19identity_decomposerEEEEEvT0_T1_T2_T3_T4_SL_jT5_PKSL_NS1_7vsmem_tE
		.amdhsa_group_segment_fixed_size 8208
		.amdhsa_private_segment_fixed_size 0
		.amdhsa_kernarg_size 320
		.amdhsa_user_sgpr_count 13
		.amdhsa_user_sgpr_dispatch_ptr 0
		.amdhsa_user_sgpr_queue_ptr 0
		.amdhsa_user_sgpr_kernarg_segment_ptr 1
		.amdhsa_user_sgpr_dispatch_id 0
		.amdhsa_user_sgpr_private_segment_size 0
		.amdhsa_wavefront_size32 1
		.amdhsa_uses_dynamic_stack 0
		.amdhsa_enable_private_segment 0
		.amdhsa_system_sgpr_workgroup_id_x 1
		.amdhsa_system_sgpr_workgroup_id_y 1
		.amdhsa_system_sgpr_workgroup_id_z 1
		.amdhsa_system_sgpr_workgroup_info 0
		.amdhsa_system_vgpr_workitem_id 0
		.amdhsa_next_free_vgpr 15
		.amdhsa_next_free_sgpr 31
		.amdhsa_reserve_vcc 1
		.amdhsa_float_round_mode_32 0
		.amdhsa_float_round_mode_16_64 0
		.amdhsa_float_denorm_mode_32 3
		.amdhsa_float_denorm_mode_16_64 3
		.amdhsa_dx10_clamp 1
		.amdhsa_ieee_mode 1
		.amdhsa_fp16_overflow 0
		.amdhsa_workgroup_processor_mode 1
		.amdhsa_memory_ordered 1
		.amdhsa_forward_progress 0
		.amdhsa_shared_vgpr_count 0
		.amdhsa_exception_fp_ieee_invalid_op 0
		.amdhsa_exception_fp_denorm_src 0
		.amdhsa_exception_fp_ieee_div_zero 0
		.amdhsa_exception_fp_ieee_overflow 0
		.amdhsa_exception_fp_ieee_underflow 0
		.amdhsa_exception_fp_ieee_inexact 0
		.amdhsa_exception_int_div_zero 0
	.end_amdhsa_kernel
	.section	.text._ZN7rocprim17ROCPRIM_304000_NS6detail35device_block_merge_mergepath_kernelINS1_37wrapped_merge_sort_block_merge_configINS0_14default_configEtN2at4cuda3cub6detail10OpaqueTypeILi8EEEEEPtSC_PSA_SD_jNS1_19radix_merge_compareILb0ELb1EtNS0_19identity_decomposerEEEEEvT0_T1_T2_T3_T4_SL_jT5_PKSL_NS1_7vsmem_tE,"axG",@progbits,_ZN7rocprim17ROCPRIM_304000_NS6detail35device_block_merge_mergepath_kernelINS1_37wrapped_merge_sort_block_merge_configINS0_14default_configEtN2at4cuda3cub6detail10OpaqueTypeILi8EEEEEPtSC_PSA_SD_jNS1_19radix_merge_compareILb0ELb1EtNS0_19identity_decomposerEEEEEvT0_T1_T2_T3_T4_SL_jT5_PKSL_NS1_7vsmem_tE,comdat
.Lfunc_end21:
	.size	_ZN7rocprim17ROCPRIM_304000_NS6detail35device_block_merge_mergepath_kernelINS1_37wrapped_merge_sort_block_merge_configINS0_14default_configEtN2at4cuda3cub6detail10OpaqueTypeILi8EEEEEPtSC_PSA_SD_jNS1_19radix_merge_compareILb0ELb1EtNS0_19identity_decomposerEEEEEvT0_T1_T2_T3_T4_SL_jT5_PKSL_NS1_7vsmem_tE, .Lfunc_end21-_ZN7rocprim17ROCPRIM_304000_NS6detail35device_block_merge_mergepath_kernelINS1_37wrapped_merge_sort_block_merge_configINS0_14default_configEtN2at4cuda3cub6detail10OpaqueTypeILi8EEEEEPtSC_PSA_SD_jNS1_19radix_merge_compareILb0ELb1EtNS0_19identity_decomposerEEEEEvT0_T1_T2_T3_T4_SL_jT5_PKSL_NS1_7vsmem_tE
                                        ; -- End function
	.section	.AMDGPU.csdata,"",@progbits
; Kernel info:
; codeLenInByte = 2468
; NumSgprs: 33
; NumVgprs: 15
; ScratchSize: 0
; MemoryBound: 1
; FloatMode: 240
; IeeeMode: 1
; LDSByteSize: 8208 bytes/workgroup (compile time only)
; SGPRBlocks: 4
; VGPRBlocks: 1
; NumSGPRsForWavesPerEU: 33
; NumVGPRsForWavesPerEU: 15
; Occupancy: 16
; WaveLimiterHint : 1
; COMPUTE_PGM_RSRC2:SCRATCH_EN: 0
; COMPUTE_PGM_RSRC2:USER_SGPR: 13
; COMPUTE_PGM_RSRC2:TRAP_HANDLER: 0
; COMPUTE_PGM_RSRC2:TGID_X_EN: 1
; COMPUTE_PGM_RSRC2:TGID_Y_EN: 1
; COMPUTE_PGM_RSRC2:TGID_Z_EN: 1
; COMPUTE_PGM_RSRC2:TIDIG_COMP_CNT: 0
	.section	.text._ZN7rocprim17ROCPRIM_304000_NS6detail33device_block_merge_oddeven_kernelINS1_37wrapped_merge_sort_block_merge_configINS0_14default_configEtN2at4cuda3cub6detail10OpaqueTypeILi8EEEEEPtSC_PSA_SD_jNS1_19radix_merge_compareILb0ELb1EtNS0_19identity_decomposerEEEEEvT0_T1_T2_T3_T4_SL_T5_,"axG",@progbits,_ZN7rocprim17ROCPRIM_304000_NS6detail33device_block_merge_oddeven_kernelINS1_37wrapped_merge_sort_block_merge_configINS0_14default_configEtN2at4cuda3cub6detail10OpaqueTypeILi8EEEEEPtSC_PSA_SD_jNS1_19radix_merge_compareILb0ELb1EtNS0_19identity_decomposerEEEEEvT0_T1_T2_T3_T4_SL_T5_,comdat
	.protected	_ZN7rocprim17ROCPRIM_304000_NS6detail33device_block_merge_oddeven_kernelINS1_37wrapped_merge_sort_block_merge_configINS0_14default_configEtN2at4cuda3cub6detail10OpaqueTypeILi8EEEEEPtSC_PSA_SD_jNS1_19radix_merge_compareILb0ELb1EtNS0_19identity_decomposerEEEEEvT0_T1_T2_T3_T4_SL_T5_ ; -- Begin function _ZN7rocprim17ROCPRIM_304000_NS6detail33device_block_merge_oddeven_kernelINS1_37wrapped_merge_sort_block_merge_configINS0_14default_configEtN2at4cuda3cub6detail10OpaqueTypeILi8EEEEEPtSC_PSA_SD_jNS1_19radix_merge_compareILb0ELb1EtNS0_19identity_decomposerEEEEEvT0_T1_T2_T3_T4_SL_T5_
	.globl	_ZN7rocprim17ROCPRIM_304000_NS6detail33device_block_merge_oddeven_kernelINS1_37wrapped_merge_sort_block_merge_configINS0_14default_configEtN2at4cuda3cub6detail10OpaqueTypeILi8EEEEEPtSC_PSA_SD_jNS1_19radix_merge_compareILb0ELb1EtNS0_19identity_decomposerEEEEEvT0_T1_T2_T3_T4_SL_T5_
	.p2align	8
	.type	_ZN7rocprim17ROCPRIM_304000_NS6detail33device_block_merge_oddeven_kernelINS1_37wrapped_merge_sort_block_merge_configINS0_14default_configEtN2at4cuda3cub6detail10OpaqueTypeILi8EEEEEPtSC_PSA_SD_jNS1_19radix_merge_compareILb0ELb1EtNS0_19identity_decomposerEEEEEvT0_T1_T2_T3_T4_SL_T5_,@function
_ZN7rocprim17ROCPRIM_304000_NS6detail33device_block_merge_oddeven_kernelINS1_37wrapped_merge_sort_block_merge_configINS0_14default_configEtN2at4cuda3cub6detail10OpaqueTypeILi8EEEEEPtSC_PSA_SD_jNS1_19radix_merge_compareILb0ELb1EtNS0_19identity_decomposerEEEEEvT0_T1_T2_T3_T4_SL_T5_: ; @_ZN7rocprim17ROCPRIM_304000_NS6detail33device_block_merge_oddeven_kernelINS1_37wrapped_merge_sort_block_merge_configINS0_14default_configEtN2at4cuda3cub6detail10OpaqueTypeILi8EEEEEPtSC_PSA_SD_jNS1_19radix_merge_compareILb0ELb1EtNS0_19identity_decomposerEEEEEvT0_T1_T2_T3_T4_SL_T5_
; %bb.0:
	s_load_b128 s[16:19], s[0:1], 0x20
	s_waitcnt lgkmcnt(0)
	s_lshr_b32 s2, s16, 8
	s_delay_alu instid0(SALU_CYCLE_1) | instskip(SKIP_4) | instid1(SALU_CYCLE_1)
	s_cmp_lg_u32 s15, s2
	s_cselect_b32 s4, -1, 0
	s_cmp_eq_u32 s15, s2
	s_cselect_b32 s3, -1, 0
	s_lshl_b32 s12, s15, 8
	s_sub_i32 s2, s16, s12
	s_delay_alu instid0(SALU_CYCLE_1) | instskip(NEXT) | instid1(VALU_DEP_1)
	v_cmp_gt_u32_e64 s2, s2, v0
	s_or_b32 s4, s4, s2
	s_delay_alu instid0(SALU_CYCLE_1)
	s_and_saveexec_b32 s5, s4
	s_cbranch_execz .LBB22_26
; %bb.1:
	s_load_b256 s[4:11], s[0:1], 0x0
	s_mov_b32 s13, 0
	v_lshlrev_b32_e32 v1, 3, v0
	s_lshl_b64 s[0:1], s[12:13], 1
	v_lshlrev_b32_e32 v3, 1, v0
	v_add_nc_u32_e32 v5, s12, v0
	s_waitcnt lgkmcnt(0)
	s_add_u32 s0, s4, s0
	s_addc_u32 s1, s5, s1
	s_lshl_b64 s[20:21], s[12:13], 3
	s_delay_alu instid0(SALU_CYCLE_1) | instskip(SKIP_4) | instid1(SALU_CYCLE_1)
	s_add_u32 s8, s8, s20
	s_addc_u32 s9, s9, s21
	global_load_b64 v[1:2], v1, s[8:9]
	global_load_u16 v7, v3, s[0:1]
	s_lshr_b32 s0, s17, 8
	s_sub_i32 s1, 0, s0
	s_delay_alu instid0(SALU_CYCLE_1) | instskip(NEXT) | instid1(SALU_CYCLE_1)
	s_and_b32 s1, s15, s1
	s_and_b32 s0, s1, s0
	s_lshl_b32 s9, s1, 8
	s_sub_i32 s1, 0, s17
	s_cmp_eq_u32 s0, 0
	s_cselect_b32 s0, -1, 0
	s_delay_alu instid0(SALU_CYCLE_1) | instskip(SKIP_1) | instid1(SALU_CYCLE_1)
	s_and_b32 s8, s0, exec_lo
	s_cselect_b32 s1, s17, s1
	s_add_i32 s1, s1, s9
	s_delay_alu instid0(SALU_CYCLE_1)
	s_cmp_lt_u32 s1, s16
	s_cbranch_scc1 .LBB22_6
; %bb.2:
	s_and_b32 vcc_lo, exec_lo, s3
	s_cbranch_vccz .LBB22_7
; %bb.3:
	s_mov_b32 s8, 0
	s_mov_b32 s12, exec_lo
                                        ; implicit-def: $vgpr3_vgpr4
	v_cmpx_gt_u32_e64 s16, v5
	s_cbranch_execz .LBB22_5
; %bb.4:
	v_mov_b32_e32 v6, 0
	s_mov_b32 s13, exec_lo
	s_delay_alu instid0(VALU_DEP_1) | instskip(SKIP_1) | instid1(VALU_DEP_2)
	v_lshlrev_b64 v[3:4], 1, v[5:6]
	v_lshlrev_b64 v[8:9], 3, v[5:6]
	v_add_co_u32 v10, vcc_lo, s6, v3
	s_delay_alu instid0(VALU_DEP_3) | instskip(NEXT) | instid1(VALU_DEP_3)
	v_add_co_ci_u32_e32 v11, vcc_lo, s7, v4, vcc_lo
	v_add_co_u32 v3, vcc_lo, s10, v8
	s_delay_alu instid0(VALU_DEP_4)
	v_add_co_ci_u32_e32 v4, vcc_lo, s11, v9, vcc_lo
	s_waitcnt vmcnt(0)
	global_store_b16 v[10:11], v7, off
.LBB22_5:
	s_or_b32 exec_lo, exec_lo, s12
	s_delay_alu instid0(SALU_CYCLE_1)
	s_and_b32 vcc_lo, exec_lo, s8
	s_cbranch_vccnz .LBB22_8
	s_branch .LBB22_9
.LBB22_6:
                                        ; implicit-def: $vgpr3_vgpr4
	s_cbranch_execnz .LBB22_10
	s_branch .LBB22_24
.LBB22_7:
                                        ; implicit-def: $vgpr3_vgpr4
	s_cbranch_execz .LBB22_9
.LBB22_8:
	v_mov_b32_e32 v6, 0
	s_or_b32 s13, s13, exec_lo
	s_delay_alu instid0(VALU_DEP_1) | instskip(SKIP_1) | instid1(VALU_DEP_2)
	v_lshlrev_b64 v[3:4], 1, v[5:6]
	v_lshlrev_b64 v[8:9], 3, v[5:6]
	v_add_co_u32 v10, vcc_lo, s6, v3
	s_delay_alu instid0(VALU_DEP_3) | instskip(NEXT) | instid1(VALU_DEP_3)
	v_add_co_ci_u32_e32 v11, vcc_lo, s7, v4, vcc_lo
	v_add_co_u32 v3, vcc_lo, s10, v8
	s_delay_alu instid0(VALU_DEP_4)
	v_add_co_ci_u32_e32 v4, vcc_lo, s11, v9, vcc_lo
	s_waitcnt vmcnt(0)
	global_store_b16 v[10:11], v7, off
.LBB22_9:
	s_branch .LBB22_24
.LBB22_10:
	s_min_u32 s8, s1, s16
	s_and_b32 vcc_lo, exec_lo, s3
	s_add_i32 s12, s9, s8
	s_min_u32 s9, s9, s8
	v_subrev_nc_u32_e32 v0, s12, v5
	s_add_i32 s12, s8, s17
	s_delay_alu instid0(SALU_CYCLE_1) | instskip(NEXT) | instid1(VALU_DEP_1)
	s_min_u32 s3, s12, s16
	v_add_nc_u32_e32 v0, s9, v0
	s_cbranch_vccz .LBB22_18
; %bb.11:
                                        ; implicit-def: $vgpr3_vgpr4
	s_and_saveexec_b32 s9, s2
	s_cbranch_execz .LBB22_17
; %bb.12:
	v_mov_b32_e32 v3, s8
	s_cmp_ge_u32 s1, s3
	s_cbranch_scc1 .LBB22_16
; %bb.13:
	s_waitcnt vmcnt(0)
	v_dual_mov_b32 v5, s3 :: v_dual_and_b32 v4, s18, v7
	v_mov_b32_e32 v3, s8
	s_mov_b32 s2, 0
	.p2align	6
.LBB22_14:                              ; =>This Inner Loop Header: Depth=1
	s_delay_alu instid0(VALU_DEP_1) | instskip(NEXT) | instid1(VALU_DEP_1)
	v_add_nc_u32_e32 v6, v3, v5
	v_and_b32_e32 v8, -2, v6
	v_lshrrev_b32_e32 v6, 1, v6
	global_load_u16 v8, v8, s[4:5]
	s_waitcnt vmcnt(0)
	v_and_b32_e32 v8, s18, v8
	s_delay_alu instid0(VALU_DEP_1) | instskip(SKIP_3) | instid1(VALU_DEP_1)
	v_cmp_gt_u16_e32 vcc_lo, v4, v8
	v_cndmask_b32_e64 v9, 0, 1, vcc_lo
	v_cmp_le_u16_e32 vcc_lo, v8, v4
	v_cndmask_b32_e64 v8, 0, 1, vcc_lo
	v_cndmask_b32_e64 v8, v8, v9, s0
	v_add_nc_u32_e32 v9, 1, v6
	s_delay_alu instid0(VALU_DEP_2) | instskip(NEXT) | instid1(VALU_DEP_1)
	v_and_b32_e32 v8, 1, v8
	v_cmp_eq_u32_e32 vcc_lo, 1, v8
	s_delay_alu instid0(VALU_DEP_3) | instskip(SKIP_1) | instid1(VALU_DEP_1)
	v_cndmask_b32_e32 v3, v3, v9, vcc_lo
	v_cndmask_b32_e32 v5, v6, v5, vcc_lo
	v_cmp_ge_u32_e32 vcc_lo, v3, v5
	s_or_b32 s2, vcc_lo, s2
	s_delay_alu instid0(SALU_CYCLE_1)
	s_and_not1_b32 exec_lo, exec_lo, s2
	s_cbranch_execnz .LBB22_14
; %bb.15:
	s_or_b32 exec_lo, exec_lo, s2
.LBB22_16:
	s_delay_alu instid0(VALU_DEP_1) | instskip(SKIP_1) | instid1(VALU_DEP_1)
	v_dual_mov_b32 v4, 0 :: v_dual_add_nc_u32 v3, v3, v0
	s_or_b32 s13, s13, exec_lo
	v_lshlrev_b64 v[5:6], 1, v[3:4]
	v_lshlrev_b64 v[3:4], 3, v[3:4]
	s_delay_alu instid0(VALU_DEP_2) | instskip(NEXT) | instid1(VALU_DEP_3)
	v_add_co_u32 v5, vcc_lo, s6, v5
	v_add_co_ci_u32_e32 v6, vcc_lo, s7, v6, vcc_lo
	s_delay_alu instid0(VALU_DEP_3) | instskip(NEXT) | instid1(VALU_DEP_4)
	v_add_co_u32 v3, vcc_lo, s10, v3
	v_add_co_ci_u32_e32 v4, vcc_lo, s11, v4, vcc_lo
	s_waitcnt vmcnt(0)
	global_store_b16 v[5:6], v7, off
.LBB22_17:
	s_or_b32 exec_lo, exec_lo, s9
	s_branch .LBB22_24
.LBB22_18:
                                        ; implicit-def: $vgpr3_vgpr4
	s_cbranch_execz .LBB22_24
; %bb.19:
	v_mov_b32_e32 v3, s8
	s_cmp_ge_u32 s1, s3
	s_cbranch_scc1 .LBB22_23
; %bb.20:
	s_waitcnt vmcnt(0)
	v_dual_mov_b32 v5, s3 :: v_dual_and_b32 v4, s18, v7
	v_mov_b32_e32 v3, s8
	s_mov_b32 s1, 0
	.p2align	6
.LBB22_21:                              ; =>This Inner Loop Header: Depth=1
	s_delay_alu instid0(VALU_DEP_1) | instskip(NEXT) | instid1(VALU_DEP_1)
	v_add_nc_u32_e32 v6, v3, v5
	v_and_b32_e32 v8, -2, v6
	v_lshrrev_b32_e32 v6, 1, v6
	global_load_u16 v8, v8, s[4:5]
	s_waitcnt vmcnt(0)
	v_and_b32_e32 v8, s18, v8
	s_delay_alu instid0(VALU_DEP_1) | instskip(SKIP_3) | instid1(VALU_DEP_1)
	v_cmp_gt_u16_e32 vcc_lo, v4, v8
	v_cndmask_b32_e64 v9, 0, 1, vcc_lo
	v_cmp_le_u16_e32 vcc_lo, v8, v4
	v_cndmask_b32_e64 v8, 0, 1, vcc_lo
	v_cndmask_b32_e64 v8, v8, v9, s0
	v_add_nc_u32_e32 v9, 1, v6
	s_delay_alu instid0(VALU_DEP_2) | instskip(NEXT) | instid1(VALU_DEP_1)
	v_and_b32_e32 v8, 1, v8
	v_cmp_eq_u32_e32 vcc_lo, 1, v8
	s_delay_alu instid0(VALU_DEP_3) | instskip(SKIP_1) | instid1(VALU_DEP_1)
	v_cndmask_b32_e32 v3, v3, v9, vcc_lo
	v_cndmask_b32_e32 v5, v6, v5, vcc_lo
	v_cmp_ge_u32_e32 vcc_lo, v3, v5
	s_or_b32 s1, vcc_lo, s1
	s_delay_alu instid0(SALU_CYCLE_1)
	s_and_not1_b32 exec_lo, exec_lo, s1
	s_cbranch_execnz .LBB22_21
; %bb.22:
	s_or_b32 exec_lo, exec_lo, s1
.LBB22_23:
	s_delay_alu instid0(VALU_DEP_1) | instskip(SKIP_1) | instid1(VALU_DEP_1)
	v_dual_mov_b32 v4, 0 :: v_dual_add_nc_u32 v3, v3, v0
	s_mov_b32 s13, -1
	v_lshlrev_b64 v[5:6], 1, v[3:4]
	v_lshlrev_b64 v[3:4], 3, v[3:4]
	s_delay_alu instid0(VALU_DEP_2) | instskip(NEXT) | instid1(VALU_DEP_3)
	v_add_co_u32 v5, vcc_lo, s6, v5
	v_add_co_ci_u32_e32 v6, vcc_lo, s7, v6, vcc_lo
	s_delay_alu instid0(VALU_DEP_3) | instskip(NEXT) | instid1(VALU_DEP_4)
	v_add_co_u32 v3, vcc_lo, s10, v3
	v_add_co_ci_u32_e32 v4, vcc_lo, s11, v4, vcc_lo
	s_waitcnt vmcnt(0)
	global_store_b16 v[5:6], v7, off
.LBB22_24:
	s_and_b32 exec_lo, exec_lo, s13
	s_cbranch_execz .LBB22_26
; %bb.25:
	s_waitcnt vmcnt(1)
	global_store_b64 v[3:4], v[1:2], off
.LBB22_26:
	s_nop 0
	s_sendmsg sendmsg(MSG_DEALLOC_VGPRS)
	s_endpgm
	.section	.rodata,"a",@progbits
	.p2align	6, 0x0
	.amdhsa_kernel _ZN7rocprim17ROCPRIM_304000_NS6detail33device_block_merge_oddeven_kernelINS1_37wrapped_merge_sort_block_merge_configINS0_14default_configEtN2at4cuda3cub6detail10OpaqueTypeILi8EEEEEPtSC_PSA_SD_jNS1_19radix_merge_compareILb0ELb1EtNS0_19identity_decomposerEEEEEvT0_T1_T2_T3_T4_SL_T5_
		.amdhsa_group_segment_fixed_size 0
		.amdhsa_private_segment_fixed_size 0
		.amdhsa_kernarg_size 44
		.amdhsa_user_sgpr_count 15
		.amdhsa_user_sgpr_dispatch_ptr 0
		.amdhsa_user_sgpr_queue_ptr 0
		.amdhsa_user_sgpr_kernarg_segment_ptr 1
		.amdhsa_user_sgpr_dispatch_id 0
		.amdhsa_user_sgpr_private_segment_size 0
		.amdhsa_wavefront_size32 1
		.amdhsa_uses_dynamic_stack 0
		.amdhsa_enable_private_segment 0
		.amdhsa_system_sgpr_workgroup_id_x 1
		.amdhsa_system_sgpr_workgroup_id_y 0
		.amdhsa_system_sgpr_workgroup_id_z 0
		.amdhsa_system_sgpr_workgroup_info 0
		.amdhsa_system_vgpr_workitem_id 0
		.amdhsa_next_free_vgpr 12
		.amdhsa_next_free_sgpr 22
		.amdhsa_reserve_vcc 1
		.amdhsa_float_round_mode_32 0
		.amdhsa_float_round_mode_16_64 0
		.amdhsa_float_denorm_mode_32 3
		.amdhsa_float_denorm_mode_16_64 3
		.amdhsa_dx10_clamp 1
		.amdhsa_ieee_mode 1
		.amdhsa_fp16_overflow 0
		.amdhsa_workgroup_processor_mode 1
		.amdhsa_memory_ordered 1
		.amdhsa_forward_progress 0
		.amdhsa_shared_vgpr_count 0
		.amdhsa_exception_fp_ieee_invalid_op 0
		.amdhsa_exception_fp_denorm_src 0
		.amdhsa_exception_fp_ieee_div_zero 0
		.amdhsa_exception_fp_ieee_overflow 0
		.amdhsa_exception_fp_ieee_underflow 0
		.amdhsa_exception_fp_ieee_inexact 0
		.amdhsa_exception_int_div_zero 0
	.end_amdhsa_kernel
	.section	.text._ZN7rocprim17ROCPRIM_304000_NS6detail33device_block_merge_oddeven_kernelINS1_37wrapped_merge_sort_block_merge_configINS0_14default_configEtN2at4cuda3cub6detail10OpaqueTypeILi8EEEEEPtSC_PSA_SD_jNS1_19radix_merge_compareILb0ELb1EtNS0_19identity_decomposerEEEEEvT0_T1_T2_T3_T4_SL_T5_,"axG",@progbits,_ZN7rocprim17ROCPRIM_304000_NS6detail33device_block_merge_oddeven_kernelINS1_37wrapped_merge_sort_block_merge_configINS0_14default_configEtN2at4cuda3cub6detail10OpaqueTypeILi8EEEEEPtSC_PSA_SD_jNS1_19radix_merge_compareILb0ELb1EtNS0_19identity_decomposerEEEEEvT0_T1_T2_T3_T4_SL_T5_,comdat
.Lfunc_end22:
	.size	_ZN7rocprim17ROCPRIM_304000_NS6detail33device_block_merge_oddeven_kernelINS1_37wrapped_merge_sort_block_merge_configINS0_14default_configEtN2at4cuda3cub6detail10OpaqueTypeILi8EEEEEPtSC_PSA_SD_jNS1_19radix_merge_compareILb0ELb1EtNS0_19identity_decomposerEEEEEvT0_T1_T2_T3_T4_SL_T5_, .Lfunc_end22-_ZN7rocprim17ROCPRIM_304000_NS6detail33device_block_merge_oddeven_kernelINS1_37wrapped_merge_sort_block_merge_configINS0_14default_configEtN2at4cuda3cub6detail10OpaqueTypeILi8EEEEEPtSC_PSA_SD_jNS1_19radix_merge_compareILb0ELb1EtNS0_19identity_decomposerEEEEEvT0_T1_T2_T3_T4_SL_T5_
                                        ; -- End function
	.section	.AMDGPU.csdata,"",@progbits
; Kernel info:
; codeLenInByte = 964
; NumSgprs: 24
; NumVgprs: 12
; ScratchSize: 0
; MemoryBound: 0
; FloatMode: 240
; IeeeMode: 1
; LDSByteSize: 0 bytes/workgroup (compile time only)
; SGPRBlocks: 2
; VGPRBlocks: 1
; NumSGPRsForWavesPerEU: 24
; NumVGPRsForWavesPerEU: 12
; Occupancy: 16
; WaveLimiterHint : 0
; COMPUTE_PGM_RSRC2:SCRATCH_EN: 0
; COMPUTE_PGM_RSRC2:USER_SGPR: 15
; COMPUTE_PGM_RSRC2:TRAP_HANDLER: 0
; COMPUTE_PGM_RSRC2:TGID_X_EN: 1
; COMPUTE_PGM_RSRC2:TGID_Y_EN: 0
; COMPUTE_PGM_RSRC2:TGID_Z_EN: 0
; COMPUTE_PGM_RSRC2:TIDIG_COMP_CNT: 0
	.section	.text._ZN7rocprim17ROCPRIM_304000_NS6detail26onesweep_histograms_kernelINS1_34wrapped_radix_sort_onesweep_configINS0_14default_configEtN2at4cuda3cub6detail10OpaqueTypeILi8EEEEELb0EPKtmNS0_19identity_decomposerEEEvT1_PT2_SG_SG_T3_jj,"axG",@progbits,_ZN7rocprim17ROCPRIM_304000_NS6detail26onesweep_histograms_kernelINS1_34wrapped_radix_sort_onesweep_configINS0_14default_configEtN2at4cuda3cub6detail10OpaqueTypeILi8EEEEELb0EPKtmNS0_19identity_decomposerEEEvT1_PT2_SG_SG_T3_jj,comdat
	.protected	_ZN7rocprim17ROCPRIM_304000_NS6detail26onesweep_histograms_kernelINS1_34wrapped_radix_sort_onesweep_configINS0_14default_configEtN2at4cuda3cub6detail10OpaqueTypeILi8EEEEELb0EPKtmNS0_19identity_decomposerEEEvT1_PT2_SG_SG_T3_jj ; -- Begin function _ZN7rocprim17ROCPRIM_304000_NS6detail26onesweep_histograms_kernelINS1_34wrapped_radix_sort_onesweep_configINS0_14default_configEtN2at4cuda3cub6detail10OpaqueTypeILi8EEEEELb0EPKtmNS0_19identity_decomposerEEEvT1_PT2_SG_SG_T3_jj
	.globl	_ZN7rocprim17ROCPRIM_304000_NS6detail26onesweep_histograms_kernelINS1_34wrapped_radix_sort_onesweep_configINS0_14default_configEtN2at4cuda3cub6detail10OpaqueTypeILi8EEEEELb0EPKtmNS0_19identity_decomposerEEEvT1_PT2_SG_SG_T3_jj
	.p2align	8
	.type	_ZN7rocprim17ROCPRIM_304000_NS6detail26onesweep_histograms_kernelINS1_34wrapped_radix_sort_onesweep_configINS0_14default_configEtN2at4cuda3cub6detail10OpaqueTypeILi8EEEEELb0EPKtmNS0_19identity_decomposerEEEvT1_PT2_SG_SG_T3_jj,@function
_ZN7rocprim17ROCPRIM_304000_NS6detail26onesweep_histograms_kernelINS1_34wrapped_radix_sort_onesweep_configINS0_14default_configEtN2at4cuda3cub6detail10OpaqueTypeILi8EEEEELb0EPKtmNS0_19identity_decomposerEEEvT1_PT2_SG_SG_T3_jj: ; @_ZN7rocprim17ROCPRIM_304000_NS6detail26onesweep_histograms_kernelINS1_34wrapped_radix_sort_onesweep_configINS0_14default_configEtN2at4cuda3cub6detail10OpaqueTypeILi8EEEEELb0EPKtmNS0_19identity_decomposerEEEvT1_PT2_SG_SG_T3_jj
; %bb.0:
	s_clause 0x1
	s_load_b256 s[4:11], s[0:1], 0x0
	s_load_b64 s[12:13], s[0:1], 0x24
	s_mov_b32 s2, s15
	s_mov_b32 s3, 0
	v_lshlrev_b32_e32 v3, 1, v0
	s_lshl_b64 s[0:1], s[2:3], 13
	s_waitcnt lgkmcnt(0)
	v_cmp_ge_u64_e64 s9, s[2:3], s[10:11]
	s_add_u32 s4, s4, s0
	s_addc_u32 s5, s5, s1
	s_mov_b32 s0, -1
	s_delay_alu instid0(VALU_DEP_1)
	s_and_b32 vcc_lo, exec_lo, s9
	s_cbranch_vccz .LBB23_34
; %bb.1:
	s_lshl_b32 s0, s10, 12
	v_mov_b32_e32 v5, 0
	s_sub_i32 s3, s8, s0
	v_add_co_u32 v1, s0, s4, v3
	s_delay_alu instid0(VALU_DEP_1) | instskip(SKIP_2) | instid1(VALU_DEP_2)
	v_add_co_ci_u32_e64 v2, null, s5, 0, s0
	v_cmp_gt_u32_e64 s2, s3, v0
	v_mov_b32_e32 v7, 0
	s_and_saveexec_b32 s0, s2
	s_cbranch_execz .LBB23_3
; %bb.2:
	global_load_u16 v7, v[1:2], off
.LBB23_3:
	s_or_b32 exec_lo, exec_lo, s0
	v_or_b32_e32 v4, 0x400, v0
	s_delay_alu instid0(VALU_DEP_1) | instskip(NEXT) | instid1(VALU_DEP_1)
	v_cmp_gt_u32_e64 s1, s3, v4
	s_and_saveexec_b32 s0, s1
	s_cbranch_execz .LBB23_5
; %bb.4:
	global_load_u16 v5, v[1:2], off offset:2048
.LBB23_5:
	s_or_b32 exec_lo, exec_lo, s0
	v_or_b32_e32 v6, 0x800, v0
	v_mov_b32_e32 v4, 0
	s_delay_alu instid0(VALU_DEP_2) | instskip(SKIP_1) | instid1(VALU_DEP_2)
	v_cmp_gt_u32_e64 s0, s3, v6
	v_mov_b32_e32 v6, 0
	s_and_saveexec_b32 s8, s0
	s_cbranch_execz .LBB23_7
; %bb.6:
	v_add_co_u32 v8, vcc_lo, 0x1000, v1
	v_add_co_ci_u32_e32 v9, vcc_lo, 0, v2, vcc_lo
	global_load_u16 v6, v[8:9], off
.LBB23_7:
	s_or_b32 exec_lo, exec_lo, s8
	v_or_b32_e32 v8, 0xc00, v0
	s_delay_alu instid0(VALU_DEP_1)
	v_cmp_gt_u32_e32 vcc_lo, s3, v8
	s_and_saveexec_b32 s8, vcc_lo
	s_cbranch_execz .LBB23_9
; %bb.8:
	v_add_co_u32 v1, s3, 0x1000, v1
	s_delay_alu instid0(VALU_DEP_1)
	v_add_co_ci_u32_e64 v2, s3, 0, v2, s3
	global_load_u16 v4, v[1:2], off offset:2048
.LBB23_9:
	s_or_b32 exec_lo, exec_lo, s8
	v_or_b32_e32 v1, 0xfffffc00, v0
	v_lshlrev_b32_e32 v2, 2, v0
	v_mov_b32_e32 v8, 0
	s_mov_b32 s3, 0
.LBB23_10:                              ; =>This Inner Loop Header: Depth=1
	s_delay_alu instid0(VALU_DEP_3) | instskip(NEXT) | instid1(VALU_DEP_1)
	v_add_co_u32 v1, s8, 0x400, v1
	s_xor_b32 s8, s8, -1
	ds_store_b32 v2, v8
	v_add_nc_u32_e32 v2, 0x1000, v2
	s_and_b32 s8, exec_lo, s8
	s_delay_alu instid0(SALU_CYCLE_1) | instskip(NEXT) | instid1(SALU_CYCLE_1)
	s_or_b32 s3, s8, s3
	s_and_not1_b32 exec_lo, exec_lo, s3
	s_cbranch_execnz .LBB23_10
; %bb.11:
	s_or_b32 exec_lo, exec_lo, s3
	s_cmp_gt_u32 s13, s12
	s_waitcnt vmcnt(0) lgkmcnt(0)
	s_cselect_b32 s3, -1, 0
	s_cmp_le_u32 s13, s12
	s_barrier
	buffer_gl0_inv
	s_cbranch_scc1 .LBB23_28
; %bb.12:
	v_dual_mov_b32 v2, 1 :: v_dual_and_b32 v1, 3, v0
	s_sub_i32 s8, s13, s12
	s_mov_b32 s10, s12
	s_mov_b32 s9, s8
	s_delay_alu instid0(VALU_DEP_1) | instskip(NEXT) | instid1(VALU_DEP_1)
	v_lshlrev_b32_e32 v1, 2, v1
	v_mov_b32_e32 v8, v1
	s_branch .LBB23_14
	.p2align	6
.LBB23_13:                              ;   in Loop: Header=BB23_14 Depth=1
	s_or_b32 exec_lo, exec_lo, s11
	v_add_nc_u32_e32 v8, 0x1000, v8
	s_add_i32 s10, s10, 8
	s_add_i32 s9, s9, -8
	s_cmp_lt_u32 s10, s13
	s_cbranch_scc0 .LBB23_16
.LBB23_14:                              ; =>This Inner Loop Header: Depth=1
	s_and_saveexec_b32 s11, s2
	s_cbranch_execz .LBB23_13
; %bb.15:                               ;   in Loop: Header=BB23_14 Depth=1
	v_lshrrev_b32_e32 v9, s10, v7
	s_min_u32 s14, s9, 8
	s_delay_alu instid0(VALU_DEP_1) | instid1(SALU_CYCLE_1)
	v_bfe_u32 v9, v9, 0, s14
	s_delay_alu instid0(VALU_DEP_1)
	v_lshl_add_u32 v9, v9, 4, v8
	ds_add_u32 v9, v2
	s_branch .LBB23_13
.LBB23_16:
	v_dual_mov_b32 v2, 1 :: v_dual_mov_b32 v7, v1
	s_mov_b32 s2, s8
	s_mov_b32 s9, s12
	s_branch .LBB23_18
	.p2align	6
.LBB23_17:                              ;   in Loop: Header=BB23_18 Depth=1
	s_or_b32 exec_lo, exec_lo, s10
	v_add_nc_u32_e32 v7, 0x1000, v7
	s_add_i32 s9, s9, 8
	s_add_i32 s2, s2, -8
	s_cmp_lt_u32 s9, s13
	s_cbranch_scc0 .LBB23_20
.LBB23_18:                              ; =>This Inner Loop Header: Depth=1
	s_and_saveexec_b32 s10, s1
	s_cbranch_execz .LBB23_17
; %bb.19:                               ;   in Loop: Header=BB23_18 Depth=1
	v_lshrrev_b32_e32 v8, s9, v5
	s_min_u32 s11, s2, 8
	s_delay_alu instid0(VALU_DEP_1) | instid1(SALU_CYCLE_1)
	v_bfe_u32 v8, v8, 0, s11
	s_delay_alu instid0(VALU_DEP_1)
	v_lshl_add_u32 v8, v8, 4, v7
	ds_add_u32 v8, v2
	s_branch .LBB23_17
.LBB23_20:
	v_dual_mov_b32 v2, 1 :: v_dual_mov_b32 v5, v1
	s_mov_b32 s1, s8
	s_mov_b32 s2, s12
	s_branch .LBB23_22
	.p2align	6
.LBB23_21:                              ;   in Loop: Header=BB23_22 Depth=1
	s_or_b32 exec_lo, exec_lo, s9
	v_add_nc_u32_e32 v5, 0x1000, v5
	s_add_i32 s2, s2, 8
	s_add_i32 s1, s1, -8
	s_cmp_lt_u32 s2, s13
	s_cbranch_scc0 .LBB23_24
.LBB23_22:                              ; =>This Inner Loop Header: Depth=1
	s_and_saveexec_b32 s9, s0
	s_cbranch_execz .LBB23_21
; %bb.23:                               ;   in Loop: Header=BB23_22 Depth=1
	v_lshrrev_b32_e32 v7, s2, v6
	s_min_u32 s10, s1, 8
	s_delay_alu instid0(VALU_DEP_1) | instid1(SALU_CYCLE_1)
	v_bfe_u32 v7, v7, 0, s10
	s_delay_alu instid0(VALU_DEP_1)
	v_lshl_add_u32 v7, v7, 4, v5
	ds_add_u32 v7, v2
	s_branch .LBB23_21
.LBB23_24:
	v_mov_b32_e32 v2, 1
	s_mov_b32 s0, s12
	s_branch .LBB23_26
	.p2align	6
.LBB23_25:                              ;   in Loop: Header=BB23_26 Depth=1
	s_or_b32 exec_lo, exec_lo, s1
	v_add_nc_u32_e32 v1, 0x1000, v1
	s_add_i32 s0, s0, 8
	s_add_i32 s8, s8, -8
	s_cmp_lt_u32 s0, s13
	s_cbranch_scc0 .LBB23_28
.LBB23_26:                              ; =>This Inner Loop Header: Depth=1
	s_and_saveexec_b32 s1, vcc_lo
	s_cbranch_execz .LBB23_25
; %bb.27:                               ;   in Loop: Header=BB23_26 Depth=1
	v_lshrrev_b32_e32 v5, s0, v4
	s_min_u32 s2, s8, 8
	s_delay_alu instid0(VALU_DEP_1) | instid1(SALU_CYCLE_1)
	v_bfe_u32 v5, v5, 0, s2
	s_delay_alu instid0(VALU_DEP_1)
	v_lshl_add_u32 v5, v5, 4, v1
	ds_add_u32 v5, v2
	s_branch .LBB23_25
.LBB23_28:
	s_and_b32 vcc_lo, exec_lo, s3
	s_waitcnt lgkmcnt(0)
	s_barrier
	buffer_gl0_inv
	s_cbranch_vccz .LBB23_33
; %bb.29:
	v_cmp_gt_u32_e32 vcc_lo, 0x100, v0
	v_dual_mov_b32 v1, v0 :: v_dual_lshlrev_b32 v4, 4, v0
	v_mov_b32_e32 v2, 0
	s_mov_b32 s1, s12
	s_set_inst_prefetch_distance 0x1
	s_branch .LBB23_31
	.p2align	6
.LBB23_30:                              ;   in Loop: Header=BB23_31 Depth=1
	s_or_b32 exec_lo, exec_lo, s2
	v_add_nc_u32_e32 v1, 0x100, v1
	v_add_nc_u32_e32 v4, 0x1000, v4
	s_add_i32 s1, s1, 8
	s_delay_alu instid0(SALU_CYCLE_1)
	s_cmp_lt_u32 s1, s13
	s_cbranch_scc0 .LBB23_33
.LBB23_31:                              ; =>This Inner Loop Header: Depth=1
	s_and_saveexec_b32 s2, vcc_lo
	s_cbranch_execz .LBB23_30
; %bb.32:                               ;   in Loop: Header=BB23_31 Depth=1
	ds_load_2addr_b32 v[5:6], v4 offset1:1
	ds_load_2addr_b32 v[7:8], v4 offset0:2 offset1:3
	v_lshlrev_b64 v[9:10], 3, v[1:2]
	s_waitcnt lgkmcnt(1)
	v_add_nc_u32_e32 v11, v6, v5
	s_delay_alu instid0(VALU_DEP_2) | instskip(NEXT) | instid1(VALU_DEP_1)
	v_add_co_u32 v5, s0, s6, v9
	v_add_co_ci_u32_e64 v6, s0, s7, v10, s0
	s_waitcnt lgkmcnt(0)
	s_delay_alu instid0(VALU_DEP_3)
	v_add3_u32 v7, v11, v7, v8
	v_mov_b32_e32 v8, v2
	global_atomic_add_u64 v[5:6], v[7:8], off
	s_branch .LBB23_30
.LBB23_33:
	s_set_inst_prefetch_distance 0x2
	s_mov_b32 s0, 0
.LBB23_34:
	s_delay_alu instid0(SALU_CYCLE_1)
	s_and_b32 vcc_lo, exec_lo, s0
	s_cbranch_vccz .LBB23_58
; %bb.35:
	v_add_co_u32 v1, s0, s4, v3
	s_delay_alu instid0(VALU_DEP_1) | instskip(SKIP_1) | instid1(VALU_DEP_2)
	v_add_co_ci_u32_e64 v2, null, s5, 0, s0
	s_cmp_eq_u32 s12, 0
	v_add_co_u32 v1, vcc_lo, 0x1000, v1
	s_delay_alu instid0(VALU_DEP_2)
	v_add_co_ci_u32_e32 v2, vcc_lo, 0, v2, vcc_lo
	s_cselect_b32 s0, -1, 0
	s_cmp_eq_u32 s13, 16
	s_clause 0x3
	global_load_u16 v6, v3, s[4:5] offset:2048
	global_load_u16 v5, v[1:2], off
	global_load_u16 v7, v3, s[4:5]
	global_load_u16 v4, v[1:2], off offset:2048
	s_cselect_b32 s1, -1, 0
	v_or_b32_e32 v8, 0xfffffc00, v0
	v_lshlrev_b32_e32 v3, 2, v0
	s_and_b32 s1, s0, s1
	s_mov_b32 s0, 0
	s_and_b32 vcc_lo, exec_lo, s1
	s_mov_b32 s1, -1
	s_cbranch_vccnz .LBB23_53
; %bb.36:
	v_or_b32_e32 v1, 0xfffffc00, v0
	v_dual_mov_b32 v9, 0 :: v_dual_lshlrev_b32 v2, 2, v0
.LBB23_37:                              ; =>This Inner Loop Header: Depth=1
	s_delay_alu instid0(VALU_DEP_2) | instskip(NEXT) | instid1(VALU_DEP_1)
	v_add_co_u32 v1, s1, 0x400, v1
	s_xor_b32 s1, s1, -1
	ds_store_b32 v2, v9
	v_add_nc_u32_e32 v2, 0x1000, v2
	s_and_b32 s1, exec_lo, s1
	s_delay_alu instid0(SALU_CYCLE_1) | instskip(NEXT) | instid1(SALU_CYCLE_1)
	s_or_b32 s0, s1, s0
	s_and_not1_b32 exec_lo, exec_lo, s0
	s_cbranch_execnz .LBB23_37
; %bb.38:
	s_or_b32 exec_lo, exec_lo, s0
	s_cmp_gt_u32 s13, s12
	s_waitcnt vmcnt(0) lgkmcnt(0)
	s_waitcnt_vscnt null, 0x0
	s_cselect_b32 s0, -1, 0
	s_cmp_le_u32 s13, s12
	s_barrier
	buffer_gl0_inv
	s_cbranch_scc1 .LBB23_47
; %bb.39:
	v_dual_mov_b32 v2, 1 :: v_dual_and_b32 v1, 3, v0
	s_sub_i32 s1, s13, s12
	s_mov_b32 s3, s12
	s_mov_b32 s2, s1
	s_delay_alu instid0(VALU_DEP_1) | instskip(NEXT) | instid1(VALU_DEP_1)
	v_lshlrev_b32_e32 v1, 2, v1
	v_mov_b32_e32 v9, v1
.LBB23_40:                              ; =>This Inner Loop Header: Depth=1
	v_lshrrev_b32_e32 v10, s3, v7
	s_min_u32 s4, s2, 8
	s_add_i32 s3, s3, 8
	s_add_i32 s2, s2, -8
	s_cmp_ge_u32 s3, s13
	v_bfe_u32 v10, v10, 0, s4
	s_delay_alu instid0(VALU_DEP_1)
	v_lshl_add_u32 v10, v10, 4, v9
	v_add_nc_u32_e32 v9, 0x1000, v9
	ds_add_u32 v10, v2
	s_cbranch_scc0 .LBB23_40
; %bb.41:
	v_dual_mov_b32 v2, 1 :: v_dual_mov_b32 v9, v1
	s_mov_b32 s2, s1
	s_mov_b32 s3, s12
.LBB23_42:                              ; =>This Inner Loop Header: Depth=1
	s_delay_alu instid0(SALU_CYCLE_1)
	v_lshrrev_b32_e32 v10, s3, v6
	s_min_u32 s4, s2, 8
	s_add_i32 s3, s3, 8
	s_add_i32 s2, s2, -8
	s_cmp_lt_u32 s3, s13
	v_bfe_u32 v10, v10, 0, s4
	s_delay_alu instid0(VALU_DEP_1)
	v_lshl_add_u32 v10, v10, 4, v9
	v_add_nc_u32_e32 v9, 0x1000, v9
	ds_add_u32 v10, v2
	s_cbranch_scc1 .LBB23_42
; %bb.43:
	v_dual_mov_b32 v2, 1 :: v_dual_mov_b32 v9, v1
	s_mov_b32 s2, s1
	s_mov_b32 s3, s12
.LBB23_44:                              ; =>This Inner Loop Header: Depth=1
	s_delay_alu instid0(SALU_CYCLE_1)
	v_lshrrev_b32_e32 v10, s3, v5
	s_min_u32 s4, s2, 8
	s_add_i32 s3, s3, 8
	s_add_i32 s2, s2, -8
	s_cmp_lt_u32 s3, s13
	v_bfe_u32 v10, v10, 0, s4
	s_delay_alu instid0(VALU_DEP_1)
	v_lshl_add_u32 v10, v10, 4, v9
	v_add_nc_u32_e32 v9, 0x1000, v9
	ds_add_u32 v10, v2
	s_cbranch_scc1 .LBB23_44
; %bb.45:
	v_mov_b32_e32 v2, 1
	s_mov_b32 s2, s12
.LBB23_46:                              ; =>This Inner Loop Header: Depth=1
	s_delay_alu instid0(SALU_CYCLE_1)
	v_lshrrev_b32_e32 v9, s2, v4
	s_min_u32 s3, s1, 8
	s_add_i32 s2, s2, 8
	s_add_i32 s1, s1, -8
	s_cmp_lt_u32 s2, s13
	v_bfe_u32 v9, v9, 0, s3
	s_delay_alu instid0(VALU_DEP_1)
	v_lshl_add_u32 v9, v9, 4, v1
	v_add_nc_u32_e32 v1, 0x1000, v1
	ds_add_u32 v9, v2
	s_cbranch_scc1 .LBB23_46
.LBB23_47:
	s_and_b32 vcc_lo, exec_lo, s0
	s_waitcnt lgkmcnt(0)
	s_barrier
	buffer_gl0_inv
	s_cbranch_vccz .LBB23_52
; %bb.48:
	v_cmp_gt_u32_e32 vcc_lo, 0x100, v0
	v_dual_mov_b32 v2, 0 :: v_dual_lshlrev_b32 v9, 4, v0
	v_mov_b32_e32 v1, v0
	s_set_inst_prefetch_distance 0x1
	s_branch .LBB23_50
	.p2align	6
.LBB23_49:                              ;   in Loop: Header=BB23_50 Depth=1
	s_or_b32 exec_lo, exec_lo, s1
	v_add_nc_u32_e32 v1, 0x100, v1
	v_add_nc_u32_e32 v9, 0x1000, v9
	s_add_i32 s12, s12, 8
	s_delay_alu instid0(SALU_CYCLE_1)
	s_cmp_ge_u32 s12, s13
	s_cbranch_scc1 .LBB23_52
.LBB23_50:                              ; =>This Inner Loop Header: Depth=1
	s_and_saveexec_b32 s1, vcc_lo
	s_cbranch_execz .LBB23_49
; %bb.51:                               ;   in Loop: Header=BB23_50 Depth=1
	ds_load_2addr_b32 v[10:11], v9 offset1:1
	ds_load_2addr_b32 v[12:13], v9 offset0:2 offset1:3
	v_lshlrev_b64 v[14:15], 3, v[1:2]
	s_waitcnt lgkmcnt(1)
	v_add_nc_u32_e32 v16, v11, v10
	s_delay_alu instid0(VALU_DEP_2) | instskip(NEXT) | instid1(VALU_DEP_1)
	v_add_co_u32 v10, s0, s6, v14
	v_add_co_ci_u32_e64 v11, s0, s7, v15, s0
	s_waitcnt lgkmcnt(0)
	s_delay_alu instid0(VALU_DEP_3)
	v_add3_u32 v12, v16, v12, v13
	v_mov_b32_e32 v13, v2
	global_atomic_add_u64 v[10:11], v[12:13], off
	s_branch .LBB23_49
.LBB23_52:
	s_set_inst_prefetch_distance 0x2
	s_mov_b32 s1, 0
.LBB23_53:
	s_delay_alu instid0(SALU_CYCLE_1)
	s_and_b32 vcc_lo, exec_lo, s1
	s_cbranch_vccz .LBB23_58
; %bb.54:
	v_dual_mov_b32 v1, 0 :: v_dual_mov_b32 v2, v3
	s_mov_b32 s0, 0
.LBB23_55:                              ; =>This Inner Loop Header: Depth=1
	v_add_co_u32 v8, s1, 0x400, v8
	s_delay_alu instid0(VALU_DEP_1) | instskip(SKIP_3) | instid1(SALU_CYCLE_1)
	s_xor_b32 s1, s1, -1
	ds_store_b32 v2, v1
	v_add_nc_u32_e32 v2, 0x1000, v2
	s_and_b32 s1, exec_lo, s1
	s_or_b32 s0, s1, s0
	s_delay_alu instid0(SALU_CYCLE_1)
	s_and_not1_b32 exec_lo, exec_lo, s0
	s_cbranch_execnz .LBB23_55
; %bb.56:
	s_or_b32 exec_lo, exec_lo, s0
	v_and_b32_e32 v1, 3, v0
	s_waitcnt vmcnt(1)
	v_dual_mov_b32 v9, 1 :: v_dual_lshlrev_b32 v2, 2, v7
	v_lshrrev_b32_e32 v7, 6, v7
	v_lshlrev_b32_e32 v8, 2, v6
	v_lshrrev_b32_e32 v6, 6, v6
	s_delay_alu instid0(VALU_DEP_4)
	v_and_or_b32 v2, 0x3fc, v2, v1
	s_waitcnt vmcnt(0) lgkmcnt(0)
	s_waitcnt_vscnt null, 0x0
	v_and_or_b32 v7, 0x3fc, v7, v1
	v_and_or_b32 v8, 0x3fc, v8, v1
	s_barrier
	v_lshlrev_b32_e32 v2, 2, v2
	buffer_gl0_inv
	v_lshlrev_b32_e32 v7, 2, v7
	v_lshlrev_b32_e32 v8, 2, v8
	ds_add_u32 v2, v9
	ds_add_u32 v7, v9 offset:4096
	ds_add_u32 v8, v9
	v_lshlrev_b32_e32 v2, 2, v5
	v_lshrrev_b32_e32 v5, 6, v5
	v_lshlrev_b32_e32 v7, 2, v4
	v_lshrrev_b32_e32 v4, 6, v4
	v_and_or_b32 v6, 0x3fc, v6, v1
	v_and_or_b32 v2, 0x3fc, v2, v1
	v_and_or_b32 v5, 0x3fc, v5, v1
	v_and_or_b32 v7, 0x3fc, v7, v1
	v_and_or_b32 v1, 0x3fc, v4, v1
	v_lshlrev_b32_e32 v4, 2, v6
	v_lshlrev_b32_e32 v2, 2, v2
	v_lshlrev_b32_e32 v5, 2, v5
	v_lshlrev_b32_e32 v6, 2, v7
	v_lshlrev_b32_e32 v1, 2, v1
	ds_add_u32 v4, v9 offset:4096
	ds_add_u32 v2, v9
	ds_add_u32 v5, v9 offset:4096
	ds_add_u32 v6, v9
	ds_add_u32 v1, v9 offset:4096
	s_waitcnt lgkmcnt(0)
	s_barrier
	buffer_gl0_inv
	s_mov_b32 s0, exec_lo
	v_cmpx_gt_u32_e32 0x100, v0
	s_cbranch_execz .LBB23_58
; %bb.57:
	v_lshlrev_b32_e32 v5, 2, v3
	v_lshlrev_b32_e32 v6, 3, v0
	ds_load_2addr_b32 v[1:2], v5 offset1:1
	ds_load_2addr_b32 v[3:4], v5 offset0:2 offset1:3
	s_waitcnt lgkmcnt(1)
	v_dual_mov_b32 v1, 0 :: v_dual_add_nc_u32 v2, v2, v1
	s_waitcnt lgkmcnt(0)
	s_delay_alu instid0(VALU_DEP_1)
	v_add3_u32 v0, v2, v3, v4
	v_add_nc_u32_e32 v2, 0x1000, v5
	global_atomic_add_u64 v6, v[0:1], s[6:7]
	v_add_nc_u32_e32 v0, 0x1008, v5
	ds_load_2addr_b32 v[2:3], v2 offset1:1
	ds_load_2addr_b32 v[4:5], v0 offset1:1
	s_waitcnt lgkmcnt(1)
	v_add_nc_u32_e32 v0, v3, v2
	s_waitcnt lgkmcnt(0)
	s_delay_alu instid0(VALU_DEP_1)
	v_add3_u32 v0, v0, v4, v5
	global_atomic_add_u64 v6, v[0:1], s[6:7] offset:2048
.LBB23_58:
	s_nop 0
	s_sendmsg sendmsg(MSG_DEALLOC_VGPRS)
	s_endpgm
	.section	.rodata,"a",@progbits
	.p2align	6, 0x0
	.amdhsa_kernel _ZN7rocprim17ROCPRIM_304000_NS6detail26onesweep_histograms_kernelINS1_34wrapped_radix_sort_onesweep_configINS0_14default_configEtN2at4cuda3cub6detail10OpaqueTypeILi8EEEEELb0EPKtmNS0_19identity_decomposerEEEvT1_PT2_SG_SG_T3_jj
		.amdhsa_group_segment_fixed_size 8192
		.amdhsa_private_segment_fixed_size 0
		.amdhsa_kernarg_size 44
		.amdhsa_user_sgpr_count 15
		.amdhsa_user_sgpr_dispatch_ptr 0
		.amdhsa_user_sgpr_queue_ptr 0
		.amdhsa_user_sgpr_kernarg_segment_ptr 1
		.amdhsa_user_sgpr_dispatch_id 0
		.amdhsa_user_sgpr_private_segment_size 0
		.amdhsa_wavefront_size32 1
		.amdhsa_uses_dynamic_stack 0
		.amdhsa_enable_private_segment 0
		.amdhsa_system_sgpr_workgroup_id_x 1
		.amdhsa_system_sgpr_workgroup_id_y 0
		.amdhsa_system_sgpr_workgroup_id_z 0
		.amdhsa_system_sgpr_workgroup_info 0
		.amdhsa_system_vgpr_workitem_id 0
		.amdhsa_next_free_vgpr 17
		.amdhsa_next_free_sgpr 16
		.amdhsa_reserve_vcc 1
		.amdhsa_float_round_mode_32 0
		.amdhsa_float_round_mode_16_64 0
		.amdhsa_float_denorm_mode_32 3
		.amdhsa_float_denorm_mode_16_64 3
		.amdhsa_dx10_clamp 1
		.amdhsa_ieee_mode 1
		.amdhsa_fp16_overflow 0
		.amdhsa_workgroup_processor_mode 1
		.amdhsa_memory_ordered 1
		.amdhsa_forward_progress 0
		.amdhsa_shared_vgpr_count 0
		.amdhsa_exception_fp_ieee_invalid_op 0
		.amdhsa_exception_fp_denorm_src 0
		.amdhsa_exception_fp_ieee_div_zero 0
		.amdhsa_exception_fp_ieee_overflow 0
		.amdhsa_exception_fp_ieee_underflow 0
		.amdhsa_exception_fp_ieee_inexact 0
		.amdhsa_exception_int_div_zero 0
	.end_amdhsa_kernel
	.section	.text._ZN7rocprim17ROCPRIM_304000_NS6detail26onesweep_histograms_kernelINS1_34wrapped_radix_sort_onesweep_configINS0_14default_configEtN2at4cuda3cub6detail10OpaqueTypeILi8EEEEELb0EPKtmNS0_19identity_decomposerEEEvT1_PT2_SG_SG_T3_jj,"axG",@progbits,_ZN7rocprim17ROCPRIM_304000_NS6detail26onesweep_histograms_kernelINS1_34wrapped_radix_sort_onesweep_configINS0_14default_configEtN2at4cuda3cub6detail10OpaqueTypeILi8EEEEELb0EPKtmNS0_19identity_decomposerEEEvT1_PT2_SG_SG_T3_jj,comdat
.Lfunc_end23:
	.size	_ZN7rocprim17ROCPRIM_304000_NS6detail26onesweep_histograms_kernelINS1_34wrapped_radix_sort_onesweep_configINS0_14default_configEtN2at4cuda3cub6detail10OpaqueTypeILi8EEEEELb0EPKtmNS0_19identity_decomposerEEEvT1_PT2_SG_SG_T3_jj, .Lfunc_end23-_ZN7rocprim17ROCPRIM_304000_NS6detail26onesweep_histograms_kernelINS1_34wrapped_radix_sort_onesweep_configINS0_14default_configEtN2at4cuda3cub6detail10OpaqueTypeILi8EEEEELb0EPKtmNS0_19identity_decomposerEEEvT1_PT2_SG_SG_T3_jj
                                        ; -- End function
	.section	.AMDGPU.csdata,"",@progbits
; Kernel info:
; codeLenInByte = 2284
; NumSgprs: 18
; NumVgprs: 17
; ScratchSize: 0
; MemoryBound: 0
; FloatMode: 240
; IeeeMode: 1
; LDSByteSize: 8192 bytes/workgroup (compile time only)
; SGPRBlocks: 2
; VGPRBlocks: 2
; NumSGPRsForWavesPerEU: 18
; NumVGPRsForWavesPerEU: 17
; Occupancy: 16
; WaveLimiterHint : 1
; COMPUTE_PGM_RSRC2:SCRATCH_EN: 0
; COMPUTE_PGM_RSRC2:USER_SGPR: 15
; COMPUTE_PGM_RSRC2:TRAP_HANDLER: 0
; COMPUTE_PGM_RSRC2:TGID_X_EN: 1
; COMPUTE_PGM_RSRC2:TGID_Y_EN: 0
; COMPUTE_PGM_RSRC2:TGID_Z_EN: 0
; COMPUTE_PGM_RSRC2:TIDIG_COMP_CNT: 0
	.section	.text._ZN7rocprim17ROCPRIM_304000_NS6detail25onesweep_iteration_kernelINS1_34wrapped_radix_sort_onesweep_configINS0_14default_configEtN2at4cuda3cub6detail10OpaqueTypeILi8EEEEELb0EPKtPtPKSA_PSA_mNS0_19identity_decomposerEEEvT1_T2_T3_T4_jPT5_SO_PNS1_23onesweep_lookback_stateET6_jjj,"axG",@progbits,_ZN7rocprim17ROCPRIM_304000_NS6detail25onesweep_iteration_kernelINS1_34wrapped_radix_sort_onesweep_configINS0_14default_configEtN2at4cuda3cub6detail10OpaqueTypeILi8EEEEELb0EPKtPtPKSA_PSA_mNS0_19identity_decomposerEEEvT1_T2_T3_T4_jPT5_SO_PNS1_23onesweep_lookback_stateET6_jjj,comdat
	.protected	_ZN7rocprim17ROCPRIM_304000_NS6detail25onesweep_iteration_kernelINS1_34wrapped_radix_sort_onesweep_configINS0_14default_configEtN2at4cuda3cub6detail10OpaqueTypeILi8EEEEELb0EPKtPtPKSA_PSA_mNS0_19identity_decomposerEEEvT1_T2_T3_T4_jPT5_SO_PNS1_23onesweep_lookback_stateET6_jjj ; -- Begin function _ZN7rocprim17ROCPRIM_304000_NS6detail25onesweep_iteration_kernelINS1_34wrapped_radix_sort_onesweep_configINS0_14default_configEtN2at4cuda3cub6detail10OpaqueTypeILi8EEEEELb0EPKtPtPKSA_PSA_mNS0_19identity_decomposerEEEvT1_T2_T3_T4_jPT5_SO_PNS1_23onesweep_lookback_stateET6_jjj
	.globl	_ZN7rocprim17ROCPRIM_304000_NS6detail25onesweep_iteration_kernelINS1_34wrapped_radix_sort_onesweep_configINS0_14default_configEtN2at4cuda3cub6detail10OpaqueTypeILi8EEEEELb0EPKtPtPKSA_PSA_mNS0_19identity_decomposerEEEvT1_T2_T3_T4_jPT5_SO_PNS1_23onesweep_lookback_stateET6_jjj
	.p2align	8
	.type	_ZN7rocprim17ROCPRIM_304000_NS6detail25onesweep_iteration_kernelINS1_34wrapped_radix_sort_onesweep_configINS0_14default_configEtN2at4cuda3cub6detail10OpaqueTypeILi8EEEEELb0EPKtPtPKSA_PSA_mNS0_19identity_decomposerEEEvT1_T2_T3_T4_jPT5_SO_PNS1_23onesweep_lookback_stateET6_jjj,@function
_ZN7rocprim17ROCPRIM_304000_NS6detail25onesweep_iteration_kernelINS1_34wrapped_radix_sort_onesweep_configINS0_14default_configEtN2at4cuda3cub6detail10OpaqueTypeILi8EEEEELb0EPKtPtPKSA_PSA_mNS0_19identity_decomposerEEEvT1_T2_T3_T4_jPT5_SO_PNS1_23onesweep_lookback_stateET6_jjj: ; @_ZN7rocprim17ROCPRIM_304000_NS6detail25onesweep_iteration_kernelINS1_34wrapped_radix_sort_onesweep_configINS0_14default_configEtN2at4cuda3cub6detail10OpaqueTypeILi8EEEEELb0EPKtPtPKSA_PSA_mNS0_19identity_decomposerEEEvT1_T2_T3_T4_jPT5_SO_PNS1_23onesweep_lookback_stateET6_jjj
; %bb.0:
	s_clause 0x3
	s_load_b128 s[28:31], s[0:1], 0x44
	s_load_b256 s[16:23], s[0:1], 0x0
	s_load_b128 s[24:27], s[0:1], 0x28
	s_load_b64 s[12:13], s[0:1], 0x38
	v_and_b32_e32 v5, 0x3ff, v0
	v_mbcnt_lo_u32_b32 v14, -1, 0
	s_waitcnt lgkmcnt(0)
	s_cmp_ge_u32 s15, s30
	s_cbranch_scc0 .LBB24_62
; %bb.1:
	s_load_b32 s4, s[0:1], 0x20
	v_dual_mov_b32 v11, -1 :: v_dual_lshlrev_b32 v16, 2, v5
	s_lshl_b32 s5, s30, 12
	s_lshl_b32 s30, s15, 12
	s_mov_b32 s31, 0
	s_delay_alu instid0(VALU_DEP_1) | instskip(SKIP_2) | instid1(VALU_DEP_2)
	v_and_b32_e32 v10, 0xf80, v16
	v_dual_mov_b32 v12, -1 :: v_dual_lshlrev_b32 v1, 1, v14
	s_lshl_b64 s[2:3], s[30:31], 1
	v_lshlrev_b32_e32 v2, 1, v10
	v_or_b32_e32 v3, v14, v10
	s_waitcnt lgkmcnt(0)
	s_sub_i32 s34, s4, s5
	s_add_u32 s2, s16, s2
	s_addc_u32 s3, s17, s3
	v_add_co_u32 v1, s2, s2, v1
	s_delay_alu instid0(VALU_DEP_1) | instskip(SKIP_1) | instid1(VALU_DEP_3)
	v_add_co_ci_u32_e64 v4, null, s3, 0, s2
	v_cmp_gt_u32_e32 vcc_lo, s34, v3
	v_add_co_u32 v1, s2, v1, v2
	s_delay_alu instid0(VALU_DEP_1)
	v_add_co_ci_u32_e64 v2, s2, 0, v4, s2
	s_and_saveexec_b32 s2, vcc_lo
	s_cbranch_execz .LBB24_3
; %bb.2:
	global_load_u16 v12, v[1:2], off
.LBB24_3:
	s_or_b32 exec_lo, exec_lo, s2
	v_add_nc_u32_e32 v4, 32, v3
	s_delay_alu instid0(VALU_DEP_1) | instskip(NEXT) | instid1(VALU_DEP_1)
	v_cmp_gt_u32_e64 s2, s34, v4
	s_and_saveexec_b32 s3, s2
	s_cbranch_execz .LBB24_5
; %bb.4:
	global_load_u16 v11, v[1:2], off offset:64
.LBB24_5:
	s_or_b32 exec_lo, exec_lo, s3
	v_dual_mov_b32 v13, -1 :: v_dual_add_nc_u32 v4, 64, v3
	v_mov_b32_e32 v15, -1
	s_delay_alu instid0(VALU_DEP_2) | instskip(NEXT) | instid1(VALU_DEP_1)
	v_cmp_gt_u32_e64 s3, s34, v4
	s_and_saveexec_b32 s4, s3
	s_cbranch_execz .LBB24_7
; %bb.6:
	global_load_u16 v15, v[1:2], off offset:128
.LBB24_7:
	s_or_b32 exec_lo, exec_lo, s4
	v_add_nc_u32_e32 v3, 0x60, v3
	s_delay_alu instid0(VALU_DEP_1) | instskip(NEXT) | instid1(VALU_DEP_1)
	v_cmp_gt_u32_e64 s4, s34, v3
	s_and_saveexec_b32 s5, s4
	s_cbranch_execz .LBB24_9
; %bb.8:
	global_load_u16 v13, v[1:2], off offset:192
.LBB24_9:
	s_or_b32 exec_lo, exec_lo, s5
	s_clause 0x1
	s_load_b32 s5, s[0:1], 0x5c
	s_load_b32 s14, s[0:1], 0x50
	s_add_u32 s6, s0, 0x50
	s_addc_u32 s7, s1, 0
	s_waitcnt vmcnt(0)
	v_and_b32_e32 v1, 0xffff, v12
	s_delay_alu instid0(VALU_DEP_1) | instskip(SKIP_4) | instid1(SALU_CYCLE_1)
	v_lshrrev_b32_e32 v1, s28, v1
	s_waitcnt lgkmcnt(0)
	s_lshr_b32 s8, s5, 16
	s_cmp_lt_u32 s15, s14
	s_cselect_b32 s5, 12, 18
	s_add_u32 s6, s6, s5
	s_addc_u32 s7, s7, 0
	s_lshl_b32 s5, -1, s29
	s_delay_alu instid0(SALU_CYCLE_1) | instskip(NEXT) | instid1(SALU_CYCLE_1)
	s_not_b32 s33, s5
	v_dual_mov_b32 v3, 0 :: v_dual_and_b32 v6, s33, v1
	v_bfe_u32 v1, v0, 10, 10
	global_load_u16 v4, v3, s[6:7]
	v_and_b32_e32 v2, 1, v6
	v_lshlrev_b32_e32 v7, 30, v6
	v_lshlrev_b32_e32 v8, 29, v6
	;; [unrolled: 1-line block ×4, first 2 shown]
	v_add_co_u32 v2, s5, v2, -1
	s_delay_alu instid0(VALU_DEP_1)
	v_cndmask_b32_e64 v17, 0, 1, s5
	v_not_b32_e32 v21, v7
	v_cmp_gt_i32_e64 s6, 0, v7
	v_not_b32_e32 v7, v8
	v_lshlrev_b32_e32 v19, 26, v6
	v_cmp_ne_u32_e64 s5, 0, v17
	v_ashrrev_i32_e32 v21, 31, v21
	v_lshlrev_b32_e32 v20, 25, v6
	v_ashrrev_i32_e32 v7, 31, v7
	v_lshlrev_b32_e32 v17, 24, v6
	v_xor_b32_e32 v2, s5, v2
	v_cmp_gt_i32_e64 s5, 0, v8
	v_not_b32_e32 v8, v9
	v_xor_b32_e32 v21, s6, v21
	v_cmp_gt_i32_e64 s6, 0, v9
	v_and_b32_e32 v2, exec_lo, v2
	v_not_b32_e32 v9, v18
	v_ashrrev_i32_e32 v8, 31, v8
	v_xor_b32_e32 v7, s5, v7
	v_cmp_gt_i32_e64 s5, 0, v18
	v_and_b32_e32 v2, v2, v21
	v_not_b32_e32 v18, v19
	v_ashrrev_i32_e32 v9, 31, v9
	v_xor_b32_e32 v8, s6, v8
	v_cmp_gt_i32_e64 s6, 0, v19
	v_and_b32_e32 v2, v2, v7
	v_not_b32_e32 v7, v20
	v_ashrrev_i32_e32 v18, 31, v18
	v_xor_b32_e32 v9, s5, v9
	v_cmp_gt_i32_e64 s5, 0, v20
	v_and_b32_e32 v2, v2, v8
	v_not_b32_e32 v8, v17
	v_ashrrev_i32_e32 v7, 31, v7
	v_xor_b32_e32 v18, s6, v18
	v_cmp_gt_i32_e64 s6, 0, v17
	v_and_b32_e32 v2, v2, v9
	v_bfe_u32 v9, v0, 20, 10
	v_ashrrev_i32_e32 v8, 31, v8
	v_xor_b32_e32 v7, s5, v7
	v_mul_u32_u24_e32 v17, 9, v5
	v_and_b32_e32 v2, v2, v18
	v_mad_u32_u24 v9, v9, s8, v1
	v_xor_b32_e32 v8, s6, v8
	s_delay_alu instid0(VALU_DEP_4) | instskip(NEXT) | instid1(VALU_DEP_4)
	v_lshlrev_b32_e32 v18, 2, v17
	v_and_b32_e32 v7, v2, v7
	ds_store_2addr_b32 v18, v3, v3 offset0:32 offset1:33
	ds_store_2addr_b32 v18, v3, v3 offset0:34 offset1:35
	;; [unrolled: 1-line block ×4, first 2 shown]
	ds_store_b32 v18, v3 offset:160
	v_mul_u32_u24_e32 v3, 33, v6
	s_waitcnt vmcnt(0) lgkmcnt(0)
	s_barrier
	buffer_gl0_inv
	; wave barrier
	v_mad_u64_u32 v[1:2], null, v9, v4, v[5:6]
	v_and_b32_e32 v2, v7, v8
	s_delay_alu instid0(VALU_DEP_1) | instskip(NEXT) | instid1(VALU_DEP_3)
	v_mbcnt_lo_u32_b32 v17, v2, 0
	v_lshrrev_b32_e32 v1, 5, v1
	v_cmp_ne_u32_e64 s6, 0, v2
	s_delay_alu instid0(VALU_DEP_3) | instskip(NEXT) | instid1(VALU_DEP_3)
	v_cmp_eq_u32_e64 s5, 0, v17
	v_add_lshl_u32 v19, v1, v3, 2
	s_delay_alu instid0(VALU_DEP_2) | instskip(NEXT) | instid1(SALU_CYCLE_1)
	s_and_b32 s6, s6, s5
	s_and_saveexec_b32 s5, s6
	s_cbranch_execz .LBB24_11
; %bb.10:
	v_bcnt_u32_b32 v2, v2, 0
	ds_store_b32 v19, v2 offset:128
.LBB24_11:
	s_or_b32 exec_lo, exec_lo, s5
	v_and_b32_e32 v2, 0xffff, v11
	; wave barrier
	s_delay_alu instid0(VALU_DEP_1) | instskip(NEXT) | instid1(VALU_DEP_1)
	v_lshrrev_b32_e32 v2, s28, v2
	v_and_b32_e32 v2, s33, v2
	s_delay_alu instid0(VALU_DEP_1)
	v_and_b32_e32 v3, 1, v2
	v_lshlrev_b32_e32 v4, 30, v2
	v_lshlrev_b32_e32 v6, 29, v2
	;; [unrolled: 1-line block ×4, first 2 shown]
	v_add_co_u32 v3, s5, v3, -1
	s_delay_alu instid0(VALU_DEP_1)
	v_cndmask_b32_e64 v8, 0, 1, s5
	v_not_b32_e32 v22, v4
	v_cmp_gt_i32_e64 s6, 0, v4
	v_not_b32_e32 v4, v6
	v_lshlrev_b32_e32 v20, 26, v2
	v_cmp_ne_u32_e64 s5, 0, v8
	v_ashrrev_i32_e32 v22, 31, v22
	v_lshlrev_b32_e32 v21, 25, v2
	v_ashrrev_i32_e32 v4, 31, v4
	v_lshlrev_b32_e32 v8, 24, v2
	v_xor_b32_e32 v3, s5, v3
	v_cmp_gt_i32_e64 s5, 0, v6
	v_not_b32_e32 v6, v7
	v_xor_b32_e32 v22, s6, v22
	v_cmp_gt_i32_e64 s6, 0, v7
	v_and_b32_e32 v3, exec_lo, v3
	v_not_b32_e32 v7, v9
	v_ashrrev_i32_e32 v6, 31, v6
	v_xor_b32_e32 v4, s5, v4
	v_cmp_gt_i32_e64 s5, 0, v9
	v_and_b32_e32 v3, v3, v22
	v_not_b32_e32 v9, v20
	v_ashrrev_i32_e32 v7, 31, v7
	v_xor_b32_e32 v6, s6, v6
	v_cmp_gt_i32_e64 s6, 0, v20
	v_and_b32_e32 v3, v3, v4
	;; [unrolled: 5-line block ×3, first 2 shown]
	v_not_b32_e32 v6, v8
	v_ashrrev_i32_e32 v4, 31, v4
	v_xor_b32_e32 v9, s6, v9
	v_mul_u32_u24_e32 v2, 33, v2
	v_and_b32_e32 v3, v3, v7
	v_cmp_gt_i32_e64 s6, 0, v8
	v_ashrrev_i32_e32 v6, 31, v6
	v_xor_b32_e32 v4, s5, v4
	v_add_lshl_u32 v22, v1, v2, 2
	v_and_b32_e32 v3, v3, v9
	s_delay_alu instid0(VALU_DEP_4) | instskip(SKIP_2) | instid1(VALU_DEP_1)
	v_xor_b32_e32 v2, s6, v6
	ds_load_b32 v20, v22 offset:128
	v_and_b32_e32 v3, v3, v4
	; wave barrier
	v_and_b32_e32 v2, v3, v2
	s_delay_alu instid0(VALU_DEP_1) | instskip(SKIP_1) | instid1(VALU_DEP_2)
	v_mbcnt_lo_u32_b32 v21, v2, 0
	v_cmp_ne_u32_e64 s6, 0, v2
	v_cmp_eq_u32_e64 s5, 0, v21
	s_delay_alu instid0(VALU_DEP_1) | instskip(NEXT) | instid1(SALU_CYCLE_1)
	s_and_b32 s6, s6, s5
	s_and_saveexec_b32 s5, s6
	s_cbranch_execz .LBB24_13
; %bb.12:
	s_waitcnt lgkmcnt(0)
	v_bcnt_u32_b32 v2, v2, v20
	ds_store_b32 v22, v2 offset:128
.LBB24_13:
	s_or_b32 exec_lo, exec_lo, s5
	v_and_b32_e32 v2, 0xffff, v15
	; wave barrier
	s_delay_alu instid0(VALU_DEP_1) | instskip(NEXT) | instid1(VALU_DEP_1)
	v_lshrrev_b32_e32 v2, s28, v2
	v_and_b32_e32 v2, s33, v2
	s_delay_alu instid0(VALU_DEP_1)
	v_and_b32_e32 v3, 1, v2
	v_lshlrev_b32_e32 v4, 30, v2
	v_lshlrev_b32_e32 v6, 29, v2
	;; [unrolled: 1-line block ×4, first 2 shown]
	v_add_co_u32 v3, s5, v3, -1
	s_delay_alu instid0(VALU_DEP_1)
	v_cndmask_b32_e64 v8, 0, 1, s5
	v_not_b32_e32 v25, v4
	v_cmp_gt_i32_e64 s6, 0, v4
	v_not_b32_e32 v4, v6
	v_lshlrev_b32_e32 v23, 26, v2
	v_cmp_ne_u32_e64 s5, 0, v8
	v_ashrrev_i32_e32 v25, 31, v25
	v_lshlrev_b32_e32 v24, 25, v2
	v_ashrrev_i32_e32 v4, 31, v4
	v_lshlrev_b32_e32 v8, 24, v2
	v_xor_b32_e32 v3, s5, v3
	v_cmp_gt_i32_e64 s5, 0, v6
	v_not_b32_e32 v6, v7
	v_xor_b32_e32 v25, s6, v25
	v_cmp_gt_i32_e64 s6, 0, v7
	v_and_b32_e32 v3, exec_lo, v3
	v_not_b32_e32 v7, v9
	v_ashrrev_i32_e32 v6, 31, v6
	v_xor_b32_e32 v4, s5, v4
	v_cmp_gt_i32_e64 s5, 0, v9
	v_and_b32_e32 v3, v3, v25
	v_not_b32_e32 v9, v23
	v_ashrrev_i32_e32 v7, 31, v7
	v_xor_b32_e32 v6, s6, v6
	v_cmp_gt_i32_e64 s6, 0, v23
	v_and_b32_e32 v3, v3, v4
	;; [unrolled: 5-line block ×3, first 2 shown]
	v_not_b32_e32 v6, v8
	v_ashrrev_i32_e32 v4, 31, v4
	v_xor_b32_e32 v9, s6, v9
	v_mul_u32_u24_e32 v2, 33, v2
	v_and_b32_e32 v3, v3, v7
	v_cmp_gt_i32_e64 s6, 0, v8
	v_ashrrev_i32_e32 v6, 31, v6
	v_xor_b32_e32 v4, s5, v4
	v_add_lshl_u32 v25, v1, v2, 2
	v_and_b32_e32 v3, v3, v9
	s_delay_alu instid0(VALU_DEP_4) | instskip(SKIP_2) | instid1(VALU_DEP_1)
	v_xor_b32_e32 v2, s6, v6
	ds_load_b32 v23, v25 offset:128
	v_and_b32_e32 v3, v3, v4
	; wave barrier
	v_and_b32_e32 v2, v3, v2
	s_delay_alu instid0(VALU_DEP_1) | instskip(SKIP_1) | instid1(VALU_DEP_2)
	v_mbcnt_lo_u32_b32 v24, v2, 0
	v_cmp_ne_u32_e64 s6, 0, v2
	v_cmp_eq_u32_e64 s5, 0, v24
	s_delay_alu instid0(VALU_DEP_1) | instskip(NEXT) | instid1(SALU_CYCLE_1)
	s_and_b32 s6, s6, s5
	s_and_saveexec_b32 s5, s6
	s_cbranch_execz .LBB24_15
; %bb.14:
	s_waitcnt lgkmcnt(0)
	v_bcnt_u32_b32 v2, v2, v23
	ds_store_b32 v25, v2 offset:128
.LBB24_15:
	s_or_b32 exec_lo, exec_lo, s5
	v_and_b32_e32 v2, 0xffff, v13
	; wave barrier
	v_add_nc_u32_e32 v29, 0x80, v18
	s_delay_alu instid0(VALU_DEP_2) | instskip(NEXT) | instid1(VALU_DEP_1)
	v_lshrrev_b32_e32 v2, s28, v2
	v_and_b32_e32 v2, s33, v2
	s_delay_alu instid0(VALU_DEP_1)
	v_and_b32_e32 v3, 1, v2
	v_lshlrev_b32_e32 v4, 30, v2
	v_lshlrev_b32_e32 v6, 29, v2
	;; [unrolled: 1-line block ×4, first 2 shown]
	v_add_co_u32 v3, s5, v3, -1
	s_delay_alu instid0(VALU_DEP_1)
	v_cndmask_b32_e64 v8, 0, 1, s5
	v_not_b32_e32 v28, v4
	v_cmp_gt_i32_e64 s6, 0, v4
	v_not_b32_e32 v4, v6
	v_lshlrev_b32_e32 v26, 26, v2
	v_cmp_ne_u32_e64 s5, 0, v8
	v_ashrrev_i32_e32 v28, 31, v28
	v_lshlrev_b32_e32 v27, 25, v2
	v_ashrrev_i32_e32 v4, 31, v4
	v_lshlrev_b32_e32 v8, 24, v2
	v_xor_b32_e32 v3, s5, v3
	v_cmp_gt_i32_e64 s5, 0, v6
	v_not_b32_e32 v6, v7
	v_xor_b32_e32 v28, s6, v28
	v_cmp_gt_i32_e64 s6, 0, v7
	v_and_b32_e32 v3, exec_lo, v3
	v_not_b32_e32 v7, v9
	v_ashrrev_i32_e32 v6, 31, v6
	v_xor_b32_e32 v4, s5, v4
	v_cmp_gt_i32_e64 s5, 0, v9
	v_and_b32_e32 v3, v3, v28
	v_not_b32_e32 v9, v26
	v_ashrrev_i32_e32 v7, 31, v7
	v_xor_b32_e32 v6, s6, v6
	v_cmp_gt_i32_e64 s6, 0, v26
	v_and_b32_e32 v3, v3, v4
	;; [unrolled: 5-line block ×3, first 2 shown]
	v_not_b32_e32 v6, v8
	v_ashrrev_i32_e32 v4, 31, v4
	v_xor_b32_e32 v9, s6, v9
	v_mul_u32_u24_e32 v2, 33, v2
	v_and_b32_e32 v3, v3, v7
	v_cmp_gt_i32_e64 s6, 0, v8
	v_ashrrev_i32_e32 v6, 31, v6
	v_xor_b32_e32 v4, s5, v4
	v_add_lshl_u32 v28, v1, v2, 2
	v_and_b32_e32 v3, v3, v9
	s_delay_alu instid0(VALU_DEP_4) | instskip(SKIP_2) | instid1(VALU_DEP_1)
	v_xor_b32_e32 v1, s6, v6
	ds_load_b32 v26, v28 offset:128
	v_and_b32_e32 v2, v3, v4
	; wave barrier
	v_and_b32_e32 v1, v2, v1
	s_delay_alu instid0(VALU_DEP_1) | instskip(SKIP_1) | instid1(VALU_DEP_2)
	v_mbcnt_lo_u32_b32 v27, v1, 0
	v_cmp_ne_u32_e64 s6, 0, v1
	v_cmp_eq_u32_e64 s5, 0, v27
	s_delay_alu instid0(VALU_DEP_1) | instskip(NEXT) | instid1(SALU_CYCLE_1)
	s_and_b32 s6, s6, s5
	s_and_saveexec_b32 s5, s6
	s_cbranch_execz .LBB24_17
; %bb.16:
	s_waitcnt lgkmcnt(0)
	v_bcnt_u32_b32 v1, v1, v26
	ds_store_b32 v28, v1 offset:128
.LBB24_17:
	s_or_b32 exec_lo, exec_lo, s5
	; wave barrier
	s_waitcnt lgkmcnt(0)
	s_barrier
	buffer_gl0_inv
	ds_load_2addr_b32 v[8:9], v18 offset0:32 offset1:33
	ds_load_2addr_b32 v[6:7], v29 offset0:2 offset1:3
	;; [unrolled: 1-line block ×4, first 2 shown]
	ds_load_b32 v30, v29 offset:32
	v_and_b32_e32 v33, 16, v14
	v_and_b32_e32 v34, 31, v5
	s_mov_b32 s11, exec_lo
	s_delay_alu instid0(VALU_DEP_2) | instskip(SKIP_3) | instid1(VALU_DEP_1)
	v_cmp_eq_u32_e64 s9, 0, v33
	s_waitcnt lgkmcnt(3)
	v_add3_u32 v31, v9, v8, v6
	s_waitcnt lgkmcnt(2)
	v_add3_u32 v31, v31, v7, v3
	s_waitcnt lgkmcnt(1)
	s_delay_alu instid0(VALU_DEP_1) | instskip(SKIP_1) | instid1(VALU_DEP_1)
	v_add3_u32 v31, v31, v4, v1
	s_waitcnt lgkmcnt(0)
	v_add3_u32 v30, v31, v2, v30
	v_and_b32_e32 v31, 15, v14
	s_delay_alu instid0(VALU_DEP_2) | instskip(NEXT) | instid1(VALU_DEP_2)
	v_mov_b32_dpp v32, v30 row_shr:1 row_mask:0xf bank_mask:0xf
	v_cmp_eq_u32_e64 s5, 0, v31
	v_cmp_lt_u32_e64 s6, 1, v31
	v_cmp_lt_u32_e64 s7, 3, v31
	;; [unrolled: 1-line block ×3, first 2 shown]
	s_delay_alu instid0(VALU_DEP_4) | instskip(NEXT) | instid1(VALU_DEP_1)
	v_cndmask_b32_e64 v32, v32, 0, s5
	v_add_nc_u32_e32 v30, v32, v30
	s_delay_alu instid0(VALU_DEP_1) | instskip(NEXT) | instid1(VALU_DEP_1)
	v_mov_b32_dpp v32, v30 row_shr:2 row_mask:0xf bank_mask:0xf
	v_cndmask_b32_e64 v32, 0, v32, s6
	s_delay_alu instid0(VALU_DEP_1) | instskip(NEXT) | instid1(VALU_DEP_1)
	v_add_nc_u32_e32 v30, v30, v32
	v_mov_b32_dpp v32, v30 row_shr:4 row_mask:0xf bank_mask:0xf
	s_delay_alu instid0(VALU_DEP_1) | instskip(NEXT) | instid1(VALU_DEP_1)
	v_cndmask_b32_e64 v32, 0, v32, s7
	v_add_nc_u32_e32 v30, v30, v32
	s_delay_alu instid0(VALU_DEP_1) | instskip(NEXT) | instid1(VALU_DEP_1)
	v_mov_b32_dpp v32, v30 row_shr:8 row_mask:0xf bank_mask:0xf
	v_cndmask_b32_e64 v31, 0, v32, s8
	v_bfe_i32 v32, v14, 4, 1
	s_delay_alu instid0(VALU_DEP_2) | instskip(SKIP_4) | instid1(VALU_DEP_2)
	v_add_nc_u32_e32 v30, v30, v31
	ds_swizzle_b32 v31, v30 offset:swizzle(BROADCAST,32,15)
	s_waitcnt lgkmcnt(0)
	v_and_b32_e32 v32, v32, v31
	v_lshrrev_b32_e32 v31, 5, v5
	v_add_nc_u32_e32 v30, v30, v32
	v_cmpx_eq_u32_e32 31, v34
	s_cbranch_execz .LBB24_19
; %bb.18:
	s_delay_alu instid0(VALU_DEP_3)
	v_lshlrev_b32_e32 v32, 2, v31
	ds_store_b32 v32, v30
.LBB24_19:
	s_or_b32 exec_lo, exec_lo, s11
	v_cmp_lt_u32_e64 s10, 31, v5
	s_mov_b32 s35, exec_lo
	s_waitcnt lgkmcnt(0)
	s_barrier
	buffer_gl0_inv
	v_cmpx_gt_u32_e32 32, v5
	s_cbranch_execz .LBB24_21
; %bb.20:
	ds_load_b32 v32, v16
	s_waitcnt lgkmcnt(0)
	v_mov_b32_dpp v33, v32 row_shr:1 row_mask:0xf bank_mask:0xf
	s_delay_alu instid0(VALU_DEP_1) | instskip(NEXT) | instid1(VALU_DEP_1)
	v_cndmask_b32_e64 v33, v33, 0, s5
	v_add_nc_u32_e32 v32, v33, v32
	s_delay_alu instid0(VALU_DEP_1) | instskip(NEXT) | instid1(VALU_DEP_1)
	v_mov_b32_dpp v33, v32 row_shr:2 row_mask:0xf bank_mask:0xf
	v_cndmask_b32_e64 v33, 0, v33, s6
	s_delay_alu instid0(VALU_DEP_1) | instskip(NEXT) | instid1(VALU_DEP_1)
	v_add_nc_u32_e32 v32, v32, v33
	v_mov_b32_dpp v33, v32 row_shr:4 row_mask:0xf bank_mask:0xf
	s_delay_alu instid0(VALU_DEP_1) | instskip(NEXT) | instid1(VALU_DEP_1)
	v_cndmask_b32_e64 v33, 0, v33, s7
	v_add_nc_u32_e32 v32, v32, v33
	s_delay_alu instid0(VALU_DEP_1) | instskip(NEXT) | instid1(VALU_DEP_1)
	v_mov_b32_dpp v33, v32 row_shr:8 row_mask:0xf bank_mask:0xf
	v_cndmask_b32_e64 v33, 0, v33, s8
	s_delay_alu instid0(VALU_DEP_1) | instskip(SKIP_3) | instid1(VALU_DEP_1)
	v_add_nc_u32_e32 v32, v32, v33
	ds_swizzle_b32 v33, v32 offset:swizzle(BROADCAST,32,15)
	s_waitcnt lgkmcnt(0)
	v_cndmask_b32_e64 v33, v33, 0, s9
	v_add_nc_u32_e32 v32, v32, v33
	ds_store_b32 v16, v32
.LBB24_21:
	s_or_b32 exec_lo, exec_lo, s35
	v_mov_b32_e32 v16, 0
	s_waitcnt lgkmcnt(0)
	s_barrier
	buffer_gl0_inv
	s_and_saveexec_b32 s5, s10
	s_cbranch_execz .LBB24_23
; %bb.22:
	v_lshl_add_u32 v16, v31, 2, -4
	ds_load_b32 v16, v16
.LBB24_23:
	s_or_b32 exec_lo, exec_lo, s5
	v_add_nc_u32_e32 v31, -1, v14
	s_waitcnt lgkmcnt(0)
	v_add_nc_u32_e32 v30, v16, v30
	s_delay_alu instid0(VALU_DEP_2) | instskip(NEXT) | instid1(VALU_DEP_1)
	v_cmp_gt_i32_e64 s5, 0, v31
	v_cndmask_b32_e64 v31, v31, v14, s5
	v_cmp_eq_u32_e64 s5, 0, v14
	s_delay_alu instid0(VALU_DEP_2) | instskip(SKIP_4) | instid1(VALU_DEP_1)
	v_lshlrev_b32_e32 v31, 2, v31
	ds_bpermute_b32 v30, v31, v30
	s_waitcnt lgkmcnt(0)
	v_cndmask_b32_e64 v16, v30, v16, s5
	v_cmp_ne_u32_e64 s5, 0, v5
	v_cndmask_b32_e64 v16, 0, v16, s5
	v_cmp_gt_u32_e64 s5, 0x100, v5
	s_delay_alu instid0(VALU_DEP_2) | instskip(NEXT) | instid1(VALU_DEP_1)
	v_add_nc_u32_e32 v8, v16, v8
	v_add_nc_u32_e32 v9, v8, v9
	s_delay_alu instid0(VALU_DEP_1) | instskip(NEXT) | instid1(VALU_DEP_1)
	v_add_nc_u32_e32 v6, v9, v6
	v_add_nc_u32_e32 v7, v6, v7
	s_delay_alu instid0(VALU_DEP_1) | instskip(NEXT) | instid1(VALU_DEP_1)
	;; [unrolled: 3-line block ×3, first 2 shown]
	v_add_nc_u32_e32 v1, v4, v1
	v_add_nc_u32_e32 v2, v1, v2
	ds_store_2addr_b32 v18, v16, v8 offset0:32 offset1:33
	ds_store_2addr_b32 v29, v9, v6 offset0:2 offset1:3
	;; [unrolled: 1-line block ×4, first 2 shown]
	ds_store_b32 v29, v2 offset:32
	s_waitcnt lgkmcnt(0)
	s_barrier
	buffer_gl0_inv
	ds_load_b32 v1, v19 offset:128
	ds_load_b32 v2, v22 offset:128
	;; [unrolled: 1-line block ×4, first 2 shown]
                                        ; implicit-def: $vgpr16
                                        ; implicit-def: $vgpr18
	s_and_saveexec_b32 s7, s5
	s_cbranch_execz .LBB24_27
; %bb.24:
	v_mul_u32_u24_e32 v6, 33, v5
	s_mov_b32 s8, exec_lo
	s_delay_alu instid0(VALU_DEP_1)
	v_dual_mov_b32 v6, 0x1000 :: v_dual_lshlrev_b32 v7, 2, v6
	ds_load_b32 v16, v7 offset:128
	v_cmpx_ne_u32_e32 0xff, v5
	s_cbranch_execz .LBB24_26
; %bb.25:
	ds_load_b32 v6, v7 offset:260
.LBB24_26:
	s_or_b32 exec_lo, exec_lo, s8
	s_waitcnt lgkmcnt(0)
	v_sub_nc_u32_e32 v18, v6, v16
.LBB24_27:
	s_or_b32 exec_lo, exec_lo, s7
	s_waitcnt lgkmcnt(3)
	v_add_nc_u32_e32 v22, v1, v17
	s_waitcnt lgkmcnt(2)
	v_add3_u32 v20, v21, v20, v2
	s_waitcnt lgkmcnt(1)
	v_add3_u32 v19, v24, v23, v3
	;; [unrolled: 2-line block ×3, first 2 shown]
	v_lshlrev_b32_e32 v1, 1, v22
	v_lshlrev_b32_e32 v2, 1, v20
	;; [unrolled: 1-line block ×3, first 2 shown]
	s_delay_alu instid0(VALU_DEP_4)
	v_lshlrev_b32_e32 v4, 1, v17
	s_barrier
	buffer_gl0_inv
	ds_store_b16 v1, v12 offset:2048
	ds_store_b16 v2, v11 offset:2048
	;; [unrolled: 1-line block ×4, first 2 shown]
	s_waitcnt lgkmcnt(0)
	s_barrier
	buffer_gl0_inv
	s_and_saveexec_b32 s7, s5
	s_cbranch_execz .LBB24_37
; %bb.28:
	v_lshl_or_b32 v3, s15, 8, v5
	v_mov_b32_e32 v4, 0
	v_mov_b32_e32 v8, 0
	s_mov_b32 s8, 0
	s_mov_b32 s9, s15
	s_delay_alu instid0(VALU_DEP_2) | instskip(SKIP_1) | instid1(VALU_DEP_2)
	v_lshlrev_b64 v[1:2], 2, v[3:4]
	v_or_b32_e32 v3, 2.0, v18
	v_add_co_u32 v1, s6, s12, v1
	s_delay_alu instid0(VALU_DEP_1)
	v_add_co_ci_u32_e64 v2, s6, s13, v2, s6
                                        ; implicit-def: $sgpr6
	global_store_b32 v[1:2], v3, off
	s_branch .LBB24_30
	.p2align	6
.LBB24_29:                              ;   in Loop: Header=BB24_30 Depth=1
	s_or_b32 exec_lo, exec_lo, s10
	v_and_b32_e32 v6, 0x3fffffff, v9
	v_cmp_eq_u32_e64 s6, 0x80000000, v3
	s_delay_alu instid0(VALU_DEP_2) | instskip(NEXT) | instid1(VALU_DEP_2)
	v_add_nc_u32_e32 v8, v6, v8
	s_and_b32 s10, exec_lo, s6
	s_delay_alu instid0(SALU_CYCLE_1) | instskip(NEXT) | instid1(SALU_CYCLE_1)
	s_or_b32 s8, s10, s8
	s_and_not1_b32 exec_lo, exec_lo, s8
	s_cbranch_execz .LBB24_36
.LBB24_30:                              ; =>This Loop Header: Depth=1
                                        ;     Child Loop BB24_33 Depth 2
	s_or_b32 s6, s6, exec_lo
	s_cmp_eq_u32 s9, 0
	s_cbranch_scc1 .LBB24_35
; %bb.31:                               ;   in Loop: Header=BB24_30 Depth=1
	s_add_i32 s9, s9, -1
	s_mov_b32 s10, exec_lo
	v_lshl_or_b32 v3, s9, 8, v5
	s_delay_alu instid0(VALU_DEP_1) | instskip(NEXT) | instid1(VALU_DEP_1)
	v_lshlrev_b64 v[6:7], 2, v[3:4]
	v_add_co_u32 v6, s6, s12, v6
	s_delay_alu instid0(VALU_DEP_1) | instskip(SKIP_3) | instid1(VALU_DEP_1)
	v_add_co_ci_u32_e64 v7, s6, s13, v7, s6
	global_load_b32 v9, v[6:7], off glc
	s_waitcnt vmcnt(0)
	v_and_b32_e32 v3, -2.0, v9
	v_cmpx_eq_u32_e32 0, v3
	s_cbranch_execz .LBB24_29
; %bb.32:                               ;   in Loop: Header=BB24_30 Depth=1
	s_mov_b32 s11, 0
.LBB24_33:                              ;   Parent Loop BB24_30 Depth=1
                                        ; =>  This Inner Loop Header: Depth=2
	global_load_b32 v9, v[6:7], off glc
	s_waitcnt vmcnt(0)
	v_and_b32_e32 v3, -2.0, v9
	s_delay_alu instid0(VALU_DEP_1) | instskip(NEXT) | instid1(VALU_DEP_1)
	v_cmp_ne_u32_e64 s6, 0, v3
	s_or_b32 s11, s6, s11
	s_delay_alu instid0(SALU_CYCLE_1)
	s_and_not1_b32 exec_lo, exec_lo, s11
	s_cbranch_execnz .LBB24_33
; %bb.34:                               ;   in Loop: Header=BB24_30 Depth=1
	s_or_b32 exec_lo, exec_lo, s11
	s_branch .LBB24_29
.LBB24_35:                              ;   in Loop: Header=BB24_30 Depth=1
                                        ; implicit-def: $sgpr9
	s_and_b32 s10, exec_lo, s6
	s_delay_alu instid0(SALU_CYCLE_1) | instskip(NEXT) | instid1(SALU_CYCLE_1)
	s_or_b32 s8, s10, s8
	s_and_not1_b32 exec_lo, exec_lo, s8
	s_cbranch_execnz .LBB24_30
.LBB24_36:
	s_or_b32 exec_lo, exec_lo, s8
	v_add_nc_u32_e32 v3, v8, v18
	v_lshlrev_b32_e32 v4, 3, v5
	s_delay_alu instid0(VALU_DEP_2) | instskip(SKIP_3) | instid1(VALU_DEP_1)
	v_or_b32_e32 v3, 0x80000000, v3
	global_store_b32 v[1:2], v3, off
	global_load_b64 v[1:2], v4, s[24:25]
	v_sub_co_u32 v3, s6, v8, v16
	v_sub_co_ci_u32_e64 v6, null, 0, 0, s6
	s_waitcnt vmcnt(0)
	s_delay_alu instid0(VALU_DEP_2) | instskip(NEXT) | instid1(VALU_DEP_1)
	v_add_co_u32 v1, s6, v3, v1
	v_add_co_ci_u32_e64 v2, s6, v6, v2, s6
	ds_store_b64 v4, v[1:2]
.LBB24_37:
	s_or_b32 exec_lo, exec_lo, s7
	v_cmp_gt_u32_e64 s6, s34, v5
	v_lshlrev_b32_e32 v24, 1, v5
	s_waitcnt lgkmcnt(0)
	s_waitcnt_vscnt null, 0x0
	s_barrier
	buffer_gl0_inv
	s_and_saveexec_b32 s8, s6
	s_cbranch_execz .LBB24_39
; %bb.38:
	ds_load_u16 v3, v24 offset:2048
	s_waitcnt lgkmcnt(0)
	v_and_b32_e32 v1, 0xffff, v3
	s_delay_alu instid0(VALU_DEP_1) | instskip(NEXT) | instid1(VALU_DEP_1)
	v_lshrrev_b32_e32 v1, s28, v1
	v_and_b32_e32 v1, s33, v1
	s_delay_alu instid0(VALU_DEP_1) | instskip(SKIP_3) | instid1(VALU_DEP_1)
	v_lshlrev_b32_e32 v1, 3, v1
	ds_load_b64 v[1:2], v1
	s_waitcnt lgkmcnt(0)
	v_lshlrev_b64 v[1:2], 1, v[1:2]
	v_add_co_u32 v1, s7, s18, v1
	s_delay_alu instid0(VALU_DEP_1) | instskip(NEXT) | instid1(VALU_DEP_2)
	v_add_co_ci_u32_e64 v2, s7, s19, v2, s7
	v_add_co_u32 v1, s7, v1, v24
	s_delay_alu instid0(VALU_DEP_1)
	v_add_co_ci_u32_e64 v2, s7, 0, v2, s7
	global_store_b16 v[1:2], v3, off
.LBB24_39:
	s_or_b32 exec_lo, exec_lo, s8
	v_or_b32_e32 v15, 0x400, v5
	s_delay_alu instid0(VALU_DEP_1) | instskip(NEXT) | instid1(VALU_DEP_1)
	v_cmp_gt_u32_e64 s7, s34, v15
	s_and_saveexec_b32 s9, s7
	s_cbranch_execz .LBB24_41
; %bb.40:
	ds_load_u16 v3, v24 offset:4096
	s_waitcnt lgkmcnt(0)
	v_and_b32_e32 v1, 0xffff, v3
	s_delay_alu instid0(VALU_DEP_1) | instskip(NEXT) | instid1(VALU_DEP_1)
	v_lshrrev_b32_e32 v1, s28, v1
	v_and_b32_e32 v1, s33, v1
	s_delay_alu instid0(VALU_DEP_1) | instskip(SKIP_3) | instid1(VALU_DEP_1)
	v_lshlrev_b32_e32 v1, 3, v1
	ds_load_b64 v[1:2], v1
	s_waitcnt lgkmcnt(0)
	v_lshlrev_b64 v[1:2], 1, v[1:2]
	v_add_co_u32 v1, s8, s18, v1
	s_delay_alu instid0(VALU_DEP_1) | instskip(NEXT) | instid1(VALU_DEP_2)
	v_add_co_ci_u32_e64 v2, s8, s19, v2, s8
	v_add_co_u32 v1, s8, v1, v24
	s_delay_alu instid0(VALU_DEP_1)
	v_add_co_ci_u32_e64 v2, s8, 0, v2, s8
	global_store_b16 v[1:2], v3, off offset:2048
.LBB24_41:
	s_or_b32 exec_lo, exec_lo, s9
	v_or_b32_e32 v21, 0x800, v5
	s_delay_alu instid0(VALU_DEP_1) | instskip(NEXT) | instid1(VALU_DEP_1)
	v_cmp_gt_u32_e64 s8, s34, v21
	s_and_saveexec_b32 s10, s8
	s_cbranch_execz .LBB24_43
; %bb.42:
	ds_load_u16 v3, v24 offset:6144
	v_lshlrev_b32_e32 v4, 1, v21
	s_waitcnt lgkmcnt(0)
	v_and_b32_e32 v1, 0xffff, v3
	s_delay_alu instid0(VALU_DEP_1) | instskip(NEXT) | instid1(VALU_DEP_1)
	v_lshrrev_b32_e32 v1, s28, v1
	v_and_b32_e32 v1, s33, v1
	s_delay_alu instid0(VALU_DEP_1) | instskip(SKIP_3) | instid1(VALU_DEP_1)
	v_lshlrev_b32_e32 v1, 3, v1
	ds_load_b64 v[1:2], v1
	s_waitcnt lgkmcnt(0)
	v_lshlrev_b64 v[1:2], 1, v[1:2]
	v_add_co_u32 v1, s9, s18, v1
	s_delay_alu instid0(VALU_DEP_1) | instskip(NEXT) | instid1(VALU_DEP_2)
	v_add_co_ci_u32_e64 v2, s9, s19, v2, s9
	v_add_co_u32 v1, s9, v1, v4
	s_delay_alu instid0(VALU_DEP_1)
	v_add_co_ci_u32_e64 v2, s9, 0, v2, s9
	global_store_b16 v[1:2], v3, off
.LBB24_43:
	s_or_b32 exec_lo, exec_lo, s10
	v_or_b32_e32 v23, 0xc00, v5
	s_delay_alu instid0(VALU_DEP_1) | instskip(NEXT) | instid1(VALU_DEP_1)
	v_cmp_gt_u32_e64 s9, s34, v23
	s_and_saveexec_b32 s11, s9
	s_cbranch_execz .LBB24_45
; %bb.44:
	ds_load_u16 v3, v24 offset:8192
	v_lshlrev_b32_e32 v4, 1, v23
	s_waitcnt lgkmcnt(0)
	v_and_b32_e32 v1, 0xffff, v3
	s_delay_alu instid0(VALU_DEP_1) | instskip(NEXT) | instid1(VALU_DEP_1)
	v_lshrrev_b32_e32 v1, s28, v1
	v_and_b32_e32 v1, s33, v1
	s_delay_alu instid0(VALU_DEP_1) | instskip(SKIP_3) | instid1(VALU_DEP_1)
	v_lshlrev_b32_e32 v1, 3, v1
	ds_load_b64 v[1:2], v1
	s_waitcnt lgkmcnt(0)
	v_lshlrev_b64 v[1:2], 1, v[1:2]
	v_add_co_u32 v1, s10, s18, v1
	s_delay_alu instid0(VALU_DEP_1) | instskip(NEXT) | instid1(VALU_DEP_2)
	v_add_co_ci_u32_e64 v2, s10, s19, v2, s10
	v_add_co_u32 v1, s10, v1, v4
	s_delay_alu instid0(VALU_DEP_1)
	v_add_co_ci_u32_e64 v2, s10, 0, v2, s10
	global_store_b16 v[1:2], v3, off
.LBB24_45:
	s_or_b32 exec_lo, exec_lo, s11
	v_lshlrev_b32_e32 v1, 3, v14
	s_lshl_b64 s[10:11], s[30:31], 3
	v_lshlrev_b32_e32 v2, 3, v10
	s_add_u32 s10, s20, s10
	s_addc_u32 s11, s21, s11
	v_add_co_u32 v1, s10, s10, v1
	s_delay_alu instid0(VALU_DEP_1) | instskip(NEXT) | instid1(VALU_DEP_2)
	v_add_co_ci_u32_e64 v3, null, s11, 0, s10
                                        ; implicit-def: $vgpr6_vgpr7
	v_add_co_u32 v1, s10, v1, v2
	s_delay_alu instid0(VALU_DEP_1) | instskip(SKIP_1) | instid1(SALU_CYCLE_1)
	v_add_co_ci_u32_e64 v2, s10, 0, v3, s10
	s_and_saveexec_b32 s10, vcc_lo
	s_xor_b32 s10, exec_lo, s10
	s_cbranch_execnz .LBB24_99
; %bb.46:
	s_or_b32 exec_lo, exec_lo, s10
                                        ; implicit-def: $vgpr8_vgpr9
	s_and_saveexec_b32 s10, s2
	s_cbranch_execnz .LBB24_100
.LBB24_47:
	s_or_b32 exec_lo, exec_lo, s10
                                        ; implicit-def: $vgpr10_vgpr11
	s_and_saveexec_b32 s2, s3
	s_cbranch_execnz .LBB24_101
.LBB24_48:
	s_or_b32 exec_lo, exec_lo, s2
                                        ; implicit-def: $vgpr12_vgpr13
	s_and_saveexec_b32 s2, s4
	s_cbranch_execnz .LBB24_102
.LBB24_49:
	s_or_b32 exec_lo, exec_lo, s2
                                        ; implicit-def: $vgpr1_vgpr2_vgpr3_vgpr4
	s_and_saveexec_b32 s2, s6
	s_cbranch_execnz .LBB24_103
.LBB24_50:
	s_or_b32 exec_lo, exec_lo, s2
	s_and_saveexec_b32 s2, s7
	s_cbranch_execnz .LBB24_104
.LBB24_51:
	s_or_b32 exec_lo, exec_lo, s2
	s_and_saveexec_b32 s2, s8
	s_cbranch_execnz .LBB24_105
.LBB24_52:
	s_or_b32 exec_lo, exec_lo, s2
	s_and_saveexec_b32 s2, s9
	s_cbranch_execz .LBB24_54
.LBB24_53:
	ds_load_u16 v4, v24 offset:8192
	s_waitcnt lgkmcnt(0)
	v_lshrrev_b32_e32 v4, s28, v4
	s_delay_alu instid0(VALU_DEP_1)
	v_and_b32_e32 v4, s33, v4
.LBB24_54:
	s_or_b32 exec_lo, exec_lo, s2
	v_lshlrev_b32_e32 v22, 3, v22
	v_lshlrev_b32_e32 v20, 3, v20
	;; [unrolled: 1-line block ×3, first 2 shown]
	s_waitcnt vmcnt(0)
	s_waitcnt_vscnt null, 0x0
	s_barrier
	buffer_gl0_inv
	v_lshlrev_b32_e32 v17, 3, v17
	ds_store_b64 v22, v[6:7] offset:2048
	ds_store_b64 v20, v[8:9] offset:2048
	;; [unrolled: 1-line block ×3, first 2 shown]
	v_lshlrev_b32_e32 v6, 3, v5
	ds_store_b64 v17, v[12:13] offset:2048
	s_waitcnt lgkmcnt(0)
	s_barrier
	buffer_gl0_inv
	s_and_saveexec_b32 s2, s6
	s_cbranch_execnz .LBB24_106
; %bb.55:
	s_or_b32 exec_lo, exec_lo, s2
	s_and_saveexec_b32 s2, s7
	s_cbranch_execnz .LBB24_107
.LBB24_56:
	s_or_b32 exec_lo, exec_lo, s2
	s_and_saveexec_b32 s2, s8
	s_cbranch_execnz .LBB24_108
.LBB24_57:
	s_or_b32 exec_lo, exec_lo, s2
	s_and_saveexec_b32 s2, s9
	s_cbranch_execz .LBB24_59
.LBB24_58:
	v_lshlrev_b32_e32 v1, 3, v4
	ds_load_b64 v[1:2], v1
	ds_load_b64 v[3:4], v6 offset:26624
	v_lshlrev_b32_e32 v6, 3, v23
	s_waitcnt lgkmcnt(1)
	v_lshlrev_b64 v[1:2], 3, v[1:2]
	s_delay_alu instid0(VALU_DEP_1) | instskip(NEXT) | instid1(VALU_DEP_2)
	v_add_co_u32 v1, vcc_lo, s22, v1
	v_add_co_ci_u32_e32 v2, vcc_lo, s23, v2, vcc_lo
	s_delay_alu instid0(VALU_DEP_2) | instskip(NEXT) | instid1(VALU_DEP_2)
	v_add_co_u32 v1, vcc_lo, v1, v6
	v_add_co_ci_u32_e32 v2, vcc_lo, 0, v2, vcc_lo
	s_waitcnt lgkmcnt(0)
	global_store_b64 v[1:2], v[3:4], off
.LBB24_59:
	s_or_b32 exec_lo, exec_lo, s2
	s_add_i32 s14, s14, -1
	s_mov_b32 s2, 0
	s_cmp_eq_u32 s15, s14
	s_mov_b32 s8, 0
	s_cselect_b32 s3, -1, 0
                                        ; implicit-def: $vgpr2_vgpr3
	s_delay_alu instid0(SALU_CYCLE_1) | instskip(NEXT) | instid1(SALU_CYCLE_1)
	s_and_b32 s3, s5, s3
	s_and_saveexec_b32 s4, s3
	s_delay_alu instid0(SALU_CYCLE_1)
	s_xor_b32 s3, exec_lo, s4
; %bb.60:
	v_add_co_u32 v2, s4, v16, v18
	v_mov_b32_e32 v6, 0
	v_add_co_ci_u32_e64 v3, null, 0, 0, s4
	s_mov_b32 s8, exec_lo
; %bb.61:
	s_or_b32 exec_lo, exec_lo, s3
	s_delay_alu instid0(SALU_CYCLE_1)
	s_and_b32 vcc_lo, exec_lo, s2
	s_cbranch_vccnz .LBB24_63
	s_branch .LBB24_96
.LBB24_62:
	s_mov_b32 s8, 0
                                        ; implicit-def: $vgpr2_vgpr3
	s_cbranch_execz .LBB24_96
.LBB24_63:
	v_lshlrev_b32_e32 v15, 2, v5
	s_lshl_b32 s6, s15, 12
	s_mov_b32 s7, 0
	v_lshlrev_b32_e32 v1, 1, v14
	s_lshl_b64 s[2:3], s[6:7], 1
	v_and_b32_e32 v4, 0xf80, v15
	s_add_u32 s2, s16, s2
	s_addc_u32 s3, s17, s3
	v_add_co_u32 v1, s2, s2, v1
	s_delay_alu instid0(VALU_DEP_2) | instskip(SKIP_1) | instid1(VALU_DEP_2)
	v_lshlrev_b32_e32 v2, 1, v4
	v_add_co_ci_u32_e64 v3, null, s3, 0, s2
	v_add_co_u32 v1, vcc_lo, v1, v2
	s_delay_alu instid0(VALU_DEP_2)
	v_add_co_ci_u32_e32 v2, vcc_lo, 0, v3, vcc_lo
	v_mov_b32_e32 v3, 0
	global_load_u16 v10, v[1:2], off
	s_clause 0x1
	s_load_b32 s2, s[0:1], 0x5c
	s_load_b32 s9, s[0:1], 0x50
	s_add_u32 s0, s0, 0x50
	s_addc_u32 s1, s1, 0
	s_waitcnt lgkmcnt(0)
	s_lshr_b32 s2, s2, 16
	s_cmp_lt_u32 s15, s9
	s_cselect_b32 s3, 12, 18
	s_delay_alu instid0(SALU_CYCLE_1)
	s_add_u32 s0, s0, s3
	s_addc_u32 s1, s1, 0
	global_load_u16 v6, v3, s[0:1]
	s_clause 0x2
	global_load_u16 v11, v[1:2], off offset:64
	global_load_u16 v12, v[1:2], off offset:128
	;; [unrolled: 1-line block ×3, first 2 shown]
	s_lshl_b32 s0, -1, s29
	s_delay_alu instid0(SALU_CYCLE_1) | instskip(SKIP_2) | instid1(VALU_DEP_1)
	s_not_b32 s10, s0
	s_waitcnt vmcnt(4)
	v_and_b32_e32 v1, 0xffff, v10
	v_lshrrev_b32_e32 v1, s28, v1
	s_delay_alu instid0(VALU_DEP_1) | instskip(SKIP_2) | instid1(VALU_DEP_3)
	v_and_b32_e32 v2, s10, v1
	v_bfe_u32 v1, v0, 10, 10
	v_bfe_u32 v0, v0, 20, 10
	v_and_b32_e32 v7, 1, v2
	v_lshlrev_b32_e32 v8, 30, v2
	v_lshlrev_b32_e32 v9, 29, v2
	;; [unrolled: 1-line block ×4, first 2 shown]
	v_add_co_u32 v7, s0, v7, -1
	s_delay_alu instid0(VALU_DEP_1)
	v_cndmask_b32_e64 v17, 0, 1, s0
	v_not_b32_e32 v21, v8
	v_cmp_gt_i32_e64 s0, 0, v8
	v_not_b32_e32 v8, v9
	v_lshlrev_b32_e32 v19, 26, v2
	v_cmp_ne_u32_e32 vcc_lo, 0, v17
	v_ashrrev_i32_e32 v21, 31, v21
	v_lshlrev_b32_e32 v20, 25, v2
	v_ashrrev_i32_e32 v8, 31, v8
	v_lshlrev_b32_e32 v17, 24, v2
	v_xor_b32_e32 v7, vcc_lo, v7
	v_cmp_gt_i32_e32 vcc_lo, 0, v9
	v_not_b32_e32 v9, v16
	v_xor_b32_e32 v21, s0, v21
	v_cmp_gt_i32_e64 s0, 0, v16
	v_and_b32_e32 v7, exec_lo, v7
	v_not_b32_e32 v16, v18
	v_ashrrev_i32_e32 v9, 31, v9
	v_xor_b32_e32 v8, vcc_lo, v8
	v_cmp_gt_i32_e32 vcc_lo, 0, v18
	v_and_b32_e32 v7, v7, v21
	v_not_b32_e32 v18, v19
	v_ashrrev_i32_e32 v16, 31, v16
	v_xor_b32_e32 v9, s0, v9
	v_cmp_gt_i32_e64 s0, 0, v19
	v_and_b32_e32 v7, v7, v8
	v_not_b32_e32 v8, v20
	v_ashrrev_i32_e32 v18, 31, v18
	v_xor_b32_e32 v16, vcc_lo, v16
	v_cmp_gt_i32_e32 vcc_lo, 0, v20
	v_and_b32_e32 v7, v7, v9
	v_not_b32_e32 v9, v17
	v_ashrrev_i32_e32 v8, 31, v8
	v_xor_b32_e32 v18, s0, v18
	v_cmp_gt_i32_e64 s0, 0, v17
	v_and_b32_e32 v7, v7, v16
	v_ashrrev_i32_e32 v9, 31, v9
	v_xor_b32_e32 v8, vcc_lo, v8
	v_mul_u32_u24_e32 v16, 9, v5
	v_mul_u32_u24_e32 v2, 33, v2
	v_and_b32_e32 v7, v7, v18
	v_mad_u32_u24 v18, v0, s2, v1
	v_xor_b32_e32 v9, s0, v9
	v_lshlrev_b32_e32 v17, 2, v16
	ds_store_2addr_b32 v17, v3, v3 offset0:32 offset1:33
	ds_store_2addr_b32 v17, v3, v3 offset0:34 offset1:35
	;; [unrolled: 1-line block ×4, first 2 shown]
	v_and_b32_e32 v7, v7, v8
	s_waitcnt vmcnt(3)
	v_mad_u64_u32 v[0:1], null, v18, v6, v[5:6]
	ds_store_b32 v17, v3 offset:160
	s_waitcnt vmcnt(0) lgkmcnt(0)
	s_waitcnt_vscnt null, 0x0
	v_and_b32_e32 v1, v7, v9
	s_barrier
	buffer_gl0_inv
	v_lshrrev_b32_e32 v0, 5, v0
	v_mbcnt_lo_u32_b32 v16, v1, 0
	v_cmp_ne_u32_e64 s0, 0, v1
	; wave barrier
	s_delay_alu instid0(VALU_DEP_3) | instskip(NEXT) | instid1(VALU_DEP_3)
	v_add_lshl_u32 v18, v0, v2, 2
	v_cmp_eq_u32_e32 vcc_lo, 0, v16
	s_delay_alu instid0(VALU_DEP_3) | instskip(NEXT) | instid1(SALU_CYCLE_1)
	s_and_b32 s1, s0, vcc_lo
	s_and_saveexec_b32 s0, s1
	s_cbranch_execz .LBB24_65
; %bb.64:
	v_bcnt_u32_b32 v1, v1, 0
	ds_store_b32 v18, v1 offset:128
.LBB24_65:
	s_or_b32 exec_lo, exec_lo, s0
	v_and_b32_e32 v1, 0xffff, v11
	; wave barrier
	s_delay_alu instid0(VALU_DEP_1) | instskip(NEXT) | instid1(VALU_DEP_1)
	v_lshrrev_b32_e32 v1, s28, v1
	v_and_b32_e32 v1, s10, v1
	s_delay_alu instid0(VALU_DEP_1)
	v_and_b32_e32 v2, 1, v1
	v_lshlrev_b32_e32 v3, 30, v1
	v_lshlrev_b32_e32 v6, 29, v1
	;; [unrolled: 1-line block ×4, first 2 shown]
	v_add_co_u32 v2, s0, v2, -1
	s_delay_alu instid0(VALU_DEP_1)
	v_cndmask_b32_e64 v8, 0, 1, s0
	v_not_b32_e32 v21, v3
	v_cmp_gt_i32_e64 s0, 0, v3
	v_not_b32_e32 v3, v6
	v_lshlrev_b32_e32 v19, 26, v1
	v_cmp_ne_u32_e32 vcc_lo, 0, v8
	v_ashrrev_i32_e32 v21, 31, v21
	v_lshlrev_b32_e32 v20, 25, v1
	v_ashrrev_i32_e32 v3, 31, v3
	v_lshlrev_b32_e32 v8, 24, v1
	v_xor_b32_e32 v2, vcc_lo, v2
	v_cmp_gt_i32_e32 vcc_lo, 0, v6
	v_not_b32_e32 v6, v7
	v_xor_b32_e32 v21, s0, v21
	v_cmp_gt_i32_e64 s0, 0, v7
	v_and_b32_e32 v2, exec_lo, v2
	v_not_b32_e32 v7, v9
	v_ashrrev_i32_e32 v6, 31, v6
	v_xor_b32_e32 v3, vcc_lo, v3
	v_cmp_gt_i32_e32 vcc_lo, 0, v9
	v_and_b32_e32 v2, v2, v21
	v_not_b32_e32 v9, v19
	v_ashrrev_i32_e32 v7, 31, v7
	v_xor_b32_e32 v6, s0, v6
	v_cmp_gt_i32_e64 s0, 0, v19
	v_and_b32_e32 v2, v2, v3
	v_not_b32_e32 v3, v20
	v_ashrrev_i32_e32 v9, 31, v9
	v_xor_b32_e32 v7, vcc_lo, v7
	v_cmp_gt_i32_e32 vcc_lo, 0, v20
	v_and_b32_e32 v2, v2, v6
	v_not_b32_e32 v6, v8
	v_ashrrev_i32_e32 v3, 31, v3
	v_xor_b32_e32 v9, s0, v9
	v_mul_u32_u24_e32 v1, 33, v1
	v_and_b32_e32 v2, v2, v7
	v_cmp_gt_i32_e64 s0, 0, v8
	v_ashrrev_i32_e32 v6, 31, v6
	v_xor_b32_e32 v3, vcc_lo, v3
	v_add_lshl_u32 v21, v0, v1, 2
	v_and_b32_e32 v2, v2, v9
	s_delay_alu instid0(VALU_DEP_4) | instskip(SKIP_2) | instid1(VALU_DEP_1)
	v_xor_b32_e32 v1, s0, v6
	ds_load_b32 v19, v21 offset:128
	v_and_b32_e32 v2, v2, v3
	; wave barrier
	v_and_b32_e32 v1, v2, v1
	s_delay_alu instid0(VALU_DEP_1) | instskip(SKIP_1) | instid1(VALU_DEP_2)
	v_mbcnt_lo_u32_b32 v20, v1, 0
	v_cmp_ne_u32_e64 s0, 0, v1
	v_cmp_eq_u32_e32 vcc_lo, 0, v20
	s_delay_alu instid0(VALU_DEP_2) | instskip(NEXT) | instid1(SALU_CYCLE_1)
	s_and_b32 s1, s0, vcc_lo
	s_and_saveexec_b32 s0, s1
	s_cbranch_execz .LBB24_67
; %bb.66:
	s_waitcnt lgkmcnt(0)
	v_bcnt_u32_b32 v1, v1, v19
	ds_store_b32 v21, v1 offset:128
.LBB24_67:
	s_or_b32 exec_lo, exec_lo, s0
	v_and_b32_e32 v1, 0xffff, v12
	; wave barrier
	s_delay_alu instid0(VALU_DEP_1) | instskip(NEXT) | instid1(VALU_DEP_1)
	v_lshrrev_b32_e32 v1, s28, v1
	v_and_b32_e32 v1, s10, v1
	s_delay_alu instid0(VALU_DEP_1)
	v_and_b32_e32 v2, 1, v1
	v_lshlrev_b32_e32 v3, 30, v1
	v_lshlrev_b32_e32 v6, 29, v1
	;; [unrolled: 1-line block ×4, first 2 shown]
	v_add_co_u32 v2, s0, v2, -1
	s_delay_alu instid0(VALU_DEP_1)
	v_cndmask_b32_e64 v8, 0, 1, s0
	v_not_b32_e32 v24, v3
	v_cmp_gt_i32_e64 s0, 0, v3
	v_not_b32_e32 v3, v6
	v_lshlrev_b32_e32 v22, 26, v1
	v_cmp_ne_u32_e32 vcc_lo, 0, v8
	v_ashrrev_i32_e32 v24, 31, v24
	v_lshlrev_b32_e32 v23, 25, v1
	v_ashrrev_i32_e32 v3, 31, v3
	v_lshlrev_b32_e32 v8, 24, v1
	v_xor_b32_e32 v2, vcc_lo, v2
	v_cmp_gt_i32_e32 vcc_lo, 0, v6
	v_not_b32_e32 v6, v7
	v_xor_b32_e32 v24, s0, v24
	v_cmp_gt_i32_e64 s0, 0, v7
	v_and_b32_e32 v2, exec_lo, v2
	v_not_b32_e32 v7, v9
	v_ashrrev_i32_e32 v6, 31, v6
	v_xor_b32_e32 v3, vcc_lo, v3
	v_cmp_gt_i32_e32 vcc_lo, 0, v9
	v_and_b32_e32 v2, v2, v24
	v_not_b32_e32 v9, v22
	v_ashrrev_i32_e32 v7, 31, v7
	v_xor_b32_e32 v6, s0, v6
	v_cmp_gt_i32_e64 s0, 0, v22
	v_and_b32_e32 v2, v2, v3
	v_not_b32_e32 v3, v23
	v_ashrrev_i32_e32 v9, 31, v9
	v_xor_b32_e32 v7, vcc_lo, v7
	v_cmp_gt_i32_e32 vcc_lo, 0, v23
	v_and_b32_e32 v2, v2, v6
	v_not_b32_e32 v6, v8
	v_ashrrev_i32_e32 v3, 31, v3
	v_xor_b32_e32 v9, s0, v9
	v_mul_u32_u24_e32 v1, 33, v1
	v_and_b32_e32 v2, v2, v7
	v_cmp_gt_i32_e64 s0, 0, v8
	v_ashrrev_i32_e32 v6, 31, v6
	v_xor_b32_e32 v3, vcc_lo, v3
	v_add_lshl_u32 v24, v0, v1, 2
	v_and_b32_e32 v2, v2, v9
	s_delay_alu instid0(VALU_DEP_4) | instskip(SKIP_2) | instid1(VALU_DEP_1)
	v_xor_b32_e32 v1, s0, v6
	ds_load_b32 v22, v24 offset:128
	v_and_b32_e32 v2, v2, v3
	; wave barrier
	v_and_b32_e32 v1, v2, v1
	s_delay_alu instid0(VALU_DEP_1) | instskip(SKIP_1) | instid1(VALU_DEP_2)
	v_mbcnt_lo_u32_b32 v23, v1, 0
	v_cmp_ne_u32_e64 s0, 0, v1
	v_cmp_eq_u32_e32 vcc_lo, 0, v23
	s_delay_alu instid0(VALU_DEP_2) | instskip(NEXT) | instid1(SALU_CYCLE_1)
	s_and_b32 s1, s0, vcc_lo
	s_and_saveexec_b32 s0, s1
	s_cbranch_execz .LBB24_69
; %bb.68:
	s_waitcnt lgkmcnt(0)
	v_bcnt_u32_b32 v1, v1, v22
	ds_store_b32 v24, v1 offset:128
.LBB24_69:
	s_or_b32 exec_lo, exec_lo, s0
	v_and_b32_e32 v1, 0xffff, v13
	; wave barrier
	v_add_nc_u32_e32 v28, 0x80, v17
	s_delay_alu instid0(VALU_DEP_2) | instskip(NEXT) | instid1(VALU_DEP_1)
	v_lshrrev_b32_e32 v1, s28, v1
	v_and_b32_e32 v1, s10, v1
	s_delay_alu instid0(VALU_DEP_1)
	v_and_b32_e32 v2, 1, v1
	v_lshlrev_b32_e32 v3, 30, v1
	v_lshlrev_b32_e32 v6, 29, v1
	;; [unrolled: 1-line block ×4, first 2 shown]
	v_add_co_u32 v2, s0, v2, -1
	s_delay_alu instid0(VALU_DEP_1)
	v_cndmask_b32_e64 v8, 0, 1, s0
	v_not_b32_e32 v27, v3
	v_cmp_gt_i32_e64 s0, 0, v3
	v_not_b32_e32 v3, v6
	v_lshlrev_b32_e32 v25, 26, v1
	v_cmp_ne_u32_e32 vcc_lo, 0, v8
	v_ashrrev_i32_e32 v27, 31, v27
	v_lshlrev_b32_e32 v26, 25, v1
	v_ashrrev_i32_e32 v3, 31, v3
	v_lshlrev_b32_e32 v8, 24, v1
	v_xor_b32_e32 v2, vcc_lo, v2
	v_cmp_gt_i32_e32 vcc_lo, 0, v6
	v_not_b32_e32 v6, v7
	v_xor_b32_e32 v27, s0, v27
	v_cmp_gt_i32_e64 s0, 0, v7
	v_and_b32_e32 v2, exec_lo, v2
	v_not_b32_e32 v7, v9
	v_ashrrev_i32_e32 v6, 31, v6
	v_xor_b32_e32 v3, vcc_lo, v3
	v_cmp_gt_i32_e32 vcc_lo, 0, v9
	v_and_b32_e32 v2, v2, v27
	v_not_b32_e32 v9, v25
	v_ashrrev_i32_e32 v7, 31, v7
	v_xor_b32_e32 v6, s0, v6
	v_cmp_gt_i32_e64 s0, 0, v25
	v_and_b32_e32 v2, v2, v3
	v_not_b32_e32 v3, v26
	v_ashrrev_i32_e32 v9, 31, v9
	v_xor_b32_e32 v7, vcc_lo, v7
	v_cmp_gt_i32_e32 vcc_lo, 0, v26
	v_and_b32_e32 v2, v2, v6
	v_not_b32_e32 v6, v8
	v_ashrrev_i32_e32 v3, 31, v3
	v_xor_b32_e32 v9, s0, v9
	v_mul_u32_u24_e32 v1, 33, v1
	v_and_b32_e32 v2, v2, v7
	v_cmp_gt_i32_e64 s0, 0, v8
	v_ashrrev_i32_e32 v6, 31, v6
	v_xor_b32_e32 v3, vcc_lo, v3
	v_add_lshl_u32 v27, v0, v1, 2
	v_and_b32_e32 v2, v2, v9
	s_delay_alu instid0(VALU_DEP_4) | instskip(SKIP_2) | instid1(VALU_DEP_1)
	v_xor_b32_e32 v0, s0, v6
	ds_load_b32 v25, v27 offset:128
	v_and_b32_e32 v1, v2, v3
	; wave barrier
	v_and_b32_e32 v0, v1, v0
	s_delay_alu instid0(VALU_DEP_1) | instskip(SKIP_1) | instid1(VALU_DEP_2)
	v_mbcnt_lo_u32_b32 v26, v0, 0
	v_cmp_ne_u32_e64 s0, 0, v0
	v_cmp_eq_u32_e32 vcc_lo, 0, v26
	s_delay_alu instid0(VALU_DEP_2) | instskip(NEXT) | instid1(SALU_CYCLE_1)
	s_and_b32 s1, s0, vcc_lo
	s_and_saveexec_b32 s0, s1
	s_cbranch_execz .LBB24_71
; %bb.70:
	s_waitcnt lgkmcnt(0)
	v_bcnt_u32_b32 v0, v0, v25
	ds_store_b32 v27, v0 offset:128
.LBB24_71:
	s_or_b32 exec_lo, exec_lo, s0
	; wave barrier
	s_waitcnt lgkmcnt(0)
	s_barrier
	buffer_gl0_inv
	ds_load_2addr_b32 v[8:9], v17 offset0:32 offset1:33
	ds_load_2addr_b32 v[6:7], v28 offset0:2 offset1:3
	ds_load_2addr_b32 v[2:3], v28 offset0:4 offset1:5
	ds_load_2addr_b32 v[0:1], v28 offset0:6 offset1:7
	ds_load_b32 v29, v28 offset:32
	v_and_b32_e32 v32, 16, v14
	v_and_b32_e32 v33, 31, v5
	s_mov_b32 s5, exec_lo
	s_delay_alu instid0(VALU_DEP_2) | instskip(SKIP_3) | instid1(VALU_DEP_1)
	v_cmp_eq_u32_e64 s3, 0, v32
	s_waitcnt lgkmcnt(3)
	v_add3_u32 v30, v9, v8, v6
	s_waitcnt lgkmcnt(2)
	v_add3_u32 v30, v30, v7, v2
	s_waitcnt lgkmcnt(1)
	s_delay_alu instid0(VALU_DEP_1) | instskip(SKIP_1) | instid1(VALU_DEP_1)
	v_add3_u32 v30, v30, v3, v0
	s_waitcnt lgkmcnt(0)
	v_add3_u32 v29, v30, v1, v29
	v_and_b32_e32 v30, 15, v14
	s_delay_alu instid0(VALU_DEP_2) | instskip(NEXT) | instid1(VALU_DEP_2)
	v_mov_b32_dpp v31, v29 row_shr:1 row_mask:0xf bank_mask:0xf
	v_cmp_eq_u32_e32 vcc_lo, 0, v30
	v_cmp_lt_u32_e64 s0, 1, v30
	v_cmp_lt_u32_e64 s1, 3, v30
	;; [unrolled: 1-line block ×3, first 2 shown]
	v_cndmask_b32_e64 v31, v31, 0, vcc_lo
	s_delay_alu instid0(VALU_DEP_1) | instskip(NEXT) | instid1(VALU_DEP_1)
	v_add_nc_u32_e32 v29, v31, v29
	v_mov_b32_dpp v31, v29 row_shr:2 row_mask:0xf bank_mask:0xf
	s_delay_alu instid0(VALU_DEP_1) | instskip(NEXT) | instid1(VALU_DEP_1)
	v_cndmask_b32_e64 v31, 0, v31, s0
	v_add_nc_u32_e32 v29, v29, v31
	s_delay_alu instid0(VALU_DEP_1) | instskip(NEXT) | instid1(VALU_DEP_1)
	v_mov_b32_dpp v31, v29 row_shr:4 row_mask:0xf bank_mask:0xf
	v_cndmask_b32_e64 v31, 0, v31, s1
	s_delay_alu instid0(VALU_DEP_1) | instskip(NEXT) | instid1(VALU_DEP_1)
	v_add_nc_u32_e32 v29, v29, v31
	v_mov_b32_dpp v31, v29 row_shr:8 row_mask:0xf bank_mask:0xf
	s_delay_alu instid0(VALU_DEP_1) | instskip(SKIP_1) | instid1(VALU_DEP_2)
	v_cndmask_b32_e64 v30, 0, v31, s2
	v_bfe_i32 v31, v14, 4, 1
	v_add_nc_u32_e32 v29, v29, v30
	ds_swizzle_b32 v30, v29 offset:swizzle(BROADCAST,32,15)
	s_waitcnt lgkmcnt(0)
	v_and_b32_e32 v31, v31, v30
	v_lshrrev_b32_e32 v30, 5, v5
	s_delay_alu instid0(VALU_DEP_2)
	v_add_nc_u32_e32 v29, v29, v31
	v_cmpx_eq_u32_e32 31, v33
	s_cbranch_execz .LBB24_73
; %bb.72:
	s_delay_alu instid0(VALU_DEP_3)
	v_lshlrev_b32_e32 v31, 2, v30
	ds_store_b32 v31, v29
.LBB24_73:
	s_or_b32 exec_lo, exec_lo, s5
	v_cmp_lt_u32_e64 s4, 31, v5
	s_mov_b32 s11, exec_lo
	s_waitcnt lgkmcnt(0)
	s_barrier
	buffer_gl0_inv
	v_cmpx_gt_u32_e32 32, v5
	s_cbranch_execz .LBB24_75
; %bb.74:
	ds_load_b32 v31, v15
	s_waitcnt lgkmcnt(0)
	v_mov_b32_dpp v32, v31 row_shr:1 row_mask:0xf bank_mask:0xf
	s_delay_alu instid0(VALU_DEP_1) | instskip(NEXT) | instid1(VALU_DEP_1)
	v_cndmask_b32_e64 v32, v32, 0, vcc_lo
	v_add_nc_u32_e32 v31, v32, v31
	s_delay_alu instid0(VALU_DEP_1) | instskip(NEXT) | instid1(VALU_DEP_1)
	v_mov_b32_dpp v32, v31 row_shr:2 row_mask:0xf bank_mask:0xf
	v_cndmask_b32_e64 v32, 0, v32, s0
	s_delay_alu instid0(VALU_DEP_1) | instskip(NEXT) | instid1(VALU_DEP_1)
	v_add_nc_u32_e32 v31, v31, v32
	v_mov_b32_dpp v32, v31 row_shr:4 row_mask:0xf bank_mask:0xf
	s_delay_alu instid0(VALU_DEP_1) | instskip(NEXT) | instid1(VALU_DEP_1)
	v_cndmask_b32_e64 v32, 0, v32, s1
	v_add_nc_u32_e32 v31, v31, v32
	s_delay_alu instid0(VALU_DEP_1) | instskip(NEXT) | instid1(VALU_DEP_1)
	v_mov_b32_dpp v32, v31 row_shr:8 row_mask:0xf bank_mask:0xf
	v_cndmask_b32_e64 v32, 0, v32, s2
	s_delay_alu instid0(VALU_DEP_1) | instskip(SKIP_3) | instid1(VALU_DEP_1)
	v_add_nc_u32_e32 v31, v31, v32
	ds_swizzle_b32 v32, v31 offset:swizzle(BROADCAST,32,15)
	s_waitcnt lgkmcnt(0)
	v_cndmask_b32_e64 v32, v32, 0, s3
	v_add_nc_u32_e32 v31, v31, v32
	ds_store_b32 v15, v31
.LBB24_75:
	s_or_b32 exec_lo, exec_lo, s11
	v_mov_b32_e32 v15, 0
	s_waitcnt lgkmcnt(0)
	s_barrier
	buffer_gl0_inv
	s_and_saveexec_b32 s0, s4
	s_cbranch_execz .LBB24_77
; %bb.76:
	v_lshl_add_u32 v15, v30, 2, -4
	ds_load_b32 v15, v15
.LBB24_77:
	s_or_b32 exec_lo, exec_lo, s0
	v_add_nc_u32_e32 v30, -1, v14
	v_cmp_lt_u32_e64 s0, 0xff, v5
	s_waitcnt lgkmcnt(0)
	v_add_nc_u32_e32 v29, v15, v29
	s_delay_alu instid0(VALU_DEP_3) | instskip(SKIP_2) | instid1(VALU_DEP_2)
	v_cmp_gt_i32_e32 vcc_lo, 0, v30
	v_cndmask_b32_e32 v30, v30, v14, vcc_lo
	v_cmp_eq_u32_e32 vcc_lo, 0, v14
	v_lshlrev_b32_e32 v30, 2, v30
	ds_bpermute_b32 v29, v30, v29
	s_waitcnt lgkmcnt(0)
	v_cndmask_b32_e32 v15, v29, v15, vcc_lo
	v_cmp_ne_u32_e32 vcc_lo, 0, v5
	s_delay_alu instid0(VALU_DEP_2) | instskip(SKIP_1) | instid1(VALU_DEP_2)
	v_cndmask_b32_e32 v15, 0, v15, vcc_lo
	v_cmp_gt_u32_e32 vcc_lo, 0x100, v5
	v_add_nc_u32_e32 v8, v15, v8
	s_delay_alu instid0(VALU_DEP_1) | instskip(NEXT) | instid1(VALU_DEP_1)
	v_add_nc_u32_e32 v9, v8, v9
	v_add_nc_u32_e32 v6, v9, v6
	s_delay_alu instid0(VALU_DEP_1) | instskip(NEXT) | instid1(VALU_DEP_1)
	v_add_nc_u32_e32 v7, v6, v7
	;; [unrolled: 3-line block ×3, first 2 shown]
	v_add_nc_u32_e32 v0, v3, v0
	s_delay_alu instid0(VALU_DEP_1)
	v_add_nc_u32_e32 v1, v0, v1
	ds_store_2addr_b32 v17, v15, v8 offset0:32 offset1:33
	ds_store_2addr_b32 v28, v9, v6 offset0:2 offset1:3
	;; [unrolled: 1-line block ×4, first 2 shown]
	ds_store_b32 v28, v1 offset:32
	v_mov_b32_e32 v0, 0
	s_waitcnt lgkmcnt(0)
	s_barrier
	buffer_gl0_inv
	ds_load_b32 v2, v18 offset:128
	ds_load_b32 v3, v21 offset:128
	;; [unrolled: 1-line block ×4, first 2 shown]
	v_mov_b32_e32 v1, 0
                                        ; implicit-def: $vgpr15
	s_and_saveexec_b32 s2, vcc_lo
	s_cbranch_execz .LBB24_81
; %bb.78:
	v_mul_u32_u24_e32 v0, 33, v5
	s_mov_b32 s3, exec_lo
	s_delay_alu instid0(VALU_DEP_1)
	v_dual_mov_b32 v1, 0x1000 :: v_dual_lshlrev_b32 v8, 2, v0
	ds_load_b32 v0, v8 offset:128
	v_cmpx_ne_u32_e32 0xff, v5
	s_cbranch_execz .LBB24_80
; %bb.79:
	ds_load_b32 v1, v8 offset:260
.LBB24_80:
	s_or_b32 exec_lo, exec_lo, s3
	s_waitcnt lgkmcnt(0)
	v_sub_nc_u32_e32 v15, v1, v0
	v_mov_b32_e32 v1, 0
.LBB24_81:
	s_or_b32 exec_lo, exec_lo, s2
	s_waitcnt lgkmcnt(3)
	v_add_nc_u32_e32 v21, v2, v16
	s_waitcnt lgkmcnt(1)
	v_add3_u32 v17, v23, v22, v6
	v_add3_u32 v18, v20, v19, v3
	s_waitcnt lgkmcnt(0)
	v_add3_u32 v16, v26, v25, v7
	v_lshlrev_b32_e32 v2, 1, v21
	v_lshlrev_b32_e32 v6, 1, v17
	;; [unrolled: 1-line block ×3, first 2 shown]
	s_delay_alu instid0(VALU_DEP_4)
	v_lshlrev_b32_e32 v7, 1, v16
	s_barrier
	buffer_gl0_inv
	ds_store_b16 v2, v10 offset:2048
	ds_store_b16 v3, v11 offset:2048
	;; [unrolled: 1-line block ×4, first 2 shown]
	s_waitcnt lgkmcnt(0)
	s_barrier
	buffer_gl0_inv
	s_and_saveexec_b32 s1, s0
	s_delay_alu instid0(SALU_CYCLE_1)
	s_xor_b32 s0, exec_lo, s1
; %bb.82:
	v_mov_b32_e32 v6, 0
; %bb.83:
	s_and_not1_saveexec_b32 s1, s0
	s_cbranch_execz .LBB24_93
; %bb.84:
	v_lshl_or_b32 v6, s15, 8, v5
	v_dual_mov_b32 v7, 0 :: v_dual_mov_b32 v10, 0
	s_mov_b32 s2, 0
	s_mov_b32 s3, s15
	s_delay_alu instid0(VALU_DEP_1) | instskip(SKIP_1) | instid1(VALU_DEP_2)
	v_lshlrev_b64 v[2:3], 2, v[6:7]
	v_or_b32_e32 v6, 2.0, v15
	v_add_co_u32 v2, s0, s12, v2
	s_delay_alu instid0(VALU_DEP_1)
	v_add_co_ci_u32_e64 v3, s0, s13, v3, s0
                                        ; implicit-def: $sgpr0
	global_store_b32 v[2:3], v6, off
	s_branch .LBB24_87
	.p2align	6
.LBB24_85:                              ;   in Loop: Header=BB24_87 Depth=1
	s_or_b32 exec_lo, exec_lo, s5
.LBB24_86:                              ;   in Loop: Header=BB24_87 Depth=1
	s_delay_alu instid0(SALU_CYCLE_1) | instskip(SKIP_2) | instid1(VALU_DEP_2)
	s_or_b32 exec_lo, exec_lo, s4
	v_and_b32_e32 v8, 0x3fffffff, v11
	v_cmp_eq_u32_e64 s0, 0x80000000, v6
	v_add_nc_u32_e32 v10, v8, v10
	s_delay_alu instid0(VALU_DEP_2) | instskip(NEXT) | instid1(SALU_CYCLE_1)
	s_and_b32 s4, exec_lo, s0
	s_or_b32 s2, s4, s2
	s_delay_alu instid0(SALU_CYCLE_1)
	s_and_not1_b32 exec_lo, exec_lo, s2
	s_cbranch_execz .LBB24_92
.LBB24_87:                              ; =>This Loop Header: Depth=1
                                        ;     Child Loop BB24_90 Depth 2
	s_or_b32 s0, s0, exec_lo
	s_cmp_eq_u32 s3, 0
	s_cbranch_scc1 .LBB24_91
; %bb.88:                               ;   in Loop: Header=BB24_87 Depth=1
	s_add_i32 s3, s3, -1
	s_mov_b32 s4, exec_lo
	v_lshl_or_b32 v6, s3, 8, v5
	s_delay_alu instid0(VALU_DEP_1) | instskip(NEXT) | instid1(VALU_DEP_1)
	v_lshlrev_b64 v[8:9], 2, v[6:7]
	v_add_co_u32 v8, s0, s12, v8
	s_delay_alu instid0(VALU_DEP_1) | instskip(SKIP_3) | instid1(VALU_DEP_1)
	v_add_co_ci_u32_e64 v9, s0, s13, v9, s0
	global_load_b32 v11, v[8:9], off glc
	s_waitcnt vmcnt(0)
	v_and_b32_e32 v6, -2.0, v11
	v_cmpx_eq_u32_e32 0, v6
	s_cbranch_execz .LBB24_86
; %bb.89:                               ;   in Loop: Header=BB24_87 Depth=1
	s_mov_b32 s5, 0
.LBB24_90:                              ;   Parent Loop BB24_87 Depth=1
                                        ; =>  This Inner Loop Header: Depth=2
	global_load_b32 v11, v[8:9], off glc
	s_waitcnt vmcnt(0)
	v_and_b32_e32 v6, -2.0, v11
	s_delay_alu instid0(VALU_DEP_1) | instskip(NEXT) | instid1(VALU_DEP_1)
	v_cmp_ne_u32_e64 s0, 0, v6
	s_or_b32 s5, s0, s5
	s_delay_alu instid0(SALU_CYCLE_1)
	s_and_not1_b32 exec_lo, exec_lo, s5
	s_cbranch_execnz .LBB24_90
	s_branch .LBB24_85
.LBB24_91:                              ;   in Loop: Header=BB24_87 Depth=1
                                        ; implicit-def: $sgpr3
	s_and_b32 s4, exec_lo, s0
	s_delay_alu instid0(SALU_CYCLE_1) | instskip(NEXT) | instid1(SALU_CYCLE_1)
	s_or_b32 s2, s4, s2
	s_and_not1_b32 exec_lo, exec_lo, s2
	s_cbranch_execnz .LBB24_87
.LBB24_92:
	s_or_b32 exec_lo, exec_lo, s2
	v_add_nc_u32_e32 v6, v10, v15
	v_lshlrev_b32_e32 v7, 3, v5
	s_delay_alu instid0(VALU_DEP_2) | instskip(SKIP_3) | instid1(VALU_DEP_1)
	v_or_b32_e32 v6, 0x80000000, v6
	global_store_b32 v[2:3], v6, off
	global_load_b64 v[2:3], v7, s[24:25]
	v_sub_co_u32 v6, s0, v10, v0
	v_sub_co_ci_u32_e64 v8, s0, 0, v1, s0
	s_waitcnt vmcnt(0)
	s_delay_alu instid0(VALU_DEP_2) | instskip(SKIP_1) | instid1(VALU_DEP_3)
	v_add_co_u32 v2, s0, v6, v2
	v_mov_b32_e32 v6, 0
	v_add_co_ci_u32_e64 v3, s0, v8, v3, s0
	ds_store_b64 v7, v[2:3]
.LBB24_93:
	s_or_b32 exec_lo, exec_lo, s1
	v_lshlrev_b32_e32 v2, 3, v14
	s_lshl_b64 s[0:1], s[6:7], 3
	v_lshlrev_b32_e32 v3, 3, v4
	s_add_u32 s0, s20, s0
	s_addc_u32 s1, s21, s1
	v_add_co_u32 v2, s0, s0, v2
	s_delay_alu instid0(VALU_DEP_1) | instskip(SKIP_2) | instid1(VALU_DEP_2)
	v_add_co_ci_u32_e64 v4, null, s1, 0, s0
	s_waitcnt lgkmcnt(0)
	s_waitcnt_vscnt null, 0x0
	v_add_co_u32 v2, s0, v2, v3
	s_delay_alu instid0(VALU_DEP_1)
	v_add_co_ci_u32_e64 v3, s0, 0, v4, s0
	s_barrier
	buffer_gl0_inv
	v_lshlrev_b32_e32 v4, 1, v5
	s_clause 0x3
	global_load_b64 v[7:8], v[2:3], off
	global_load_b64 v[9:10], v[2:3], off offset:256
	global_load_b64 v[11:12], v[2:3], off offset:512
	;; [unrolled: 1-line block ×3, first 2 shown]
	v_lshlrev_b32_e32 v29, 1, v5
	v_lshlrev_b32_e32 v40, 3, v18
	;; [unrolled: 1-line block ×3, first 2 shown]
	ds_load_u16 v28, v4 offset:8192
	v_or_b32_e32 v37, 0x800, v5
	ds_load_u16 v30, v29 offset:2048
	ds_load_u16 v31, v4 offset:4096
	v_or_b32_e32 v38, 0xc00, v5
	v_lshlrev_b32_e32 v39, 3, v21
	v_lshlrev_b32_e32 v21, 1, v37
	;; [unrolled: 1-line block ×3, first 2 shown]
	s_add_i32 s9, s9, -1
	v_lshlrev_b32_e32 v42, 1, v38
	s_cmp_eq_u32 s15, s9
	s_cselect_b32 s1, -1, 0
	s_delay_alu instid0(SALU_CYCLE_1)
	s_and_b32 s1, vcc_lo, s1
	s_waitcnt lgkmcnt(2)
	v_and_b32_e32 v13, 0xffff, v28
	s_waitcnt lgkmcnt(1)
	v_and_b32_e32 v19, 0xffff, v30
	;; [unrolled: 2-line block ×3, first 2 shown]
	v_lshrrev_b32_e32 v13, s28, v13
	s_delay_alu instid0(VALU_DEP_3) | instskip(NEXT) | instid1(VALU_DEP_3)
	v_lshrrev_b32_e32 v19, s28, v19
	v_lshrrev_b32_e32 v20, s28, v20
	s_delay_alu instid0(VALU_DEP_3) | instskip(NEXT) | instid1(VALU_DEP_3)
	v_and_b32_e32 v13, s10, v13
	v_and_b32_e32 v19, s10, v19
	s_delay_alu instid0(VALU_DEP_3) | instskip(NEXT) | instid1(VALU_DEP_3)
	v_and_b32_e32 v20, s10, v20
	v_lshlrev_b32_e32 v32, 3, v13
	ds_load_b64 v[13:14], v32
	ds_load_u16 v33, v4 offset:6144
	v_lshlrev_b32_e32 v34, 3, v19
	v_lshlrev_b32_e32 v35, 3, v20
	v_or_b32_e32 v4, 0x800, v4
	ds_load_b64 v[19:20], v34
	v_mad_u32_u24 v4, v5, 6, v4
	s_waitcnt lgkmcnt(2)
	v_lshlrev_b64 v[13:14], 1, v[13:14]
	s_waitcnt lgkmcnt(1)
	v_and_b32_e32 v22, 0xffff, v33
	s_delay_alu instid0(VALU_DEP_1) | instskip(SKIP_2) | instid1(VALU_DEP_1)
	v_lshrrev_b32_e32 v24, s28, v22
	ds_load_b64 v[22:23], v35
	v_and_b32_e32 v24, s10, v24
	v_lshlrev_b32_e32 v36, 3, v24
	v_lshlrev_b64 v[24:25], 1, v[5:6]
	ds_load_b64 v[26:27], v36
	s_waitcnt lgkmcnt(2)
	v_lshlrev_b64 v[17:18], 1, v[19:20]
	s_waitcnt lgkmcnt(1)
	v_lshlrev_b64 v[19:20], 1, v[22:23]
	s_delay_alu instid0(VALU_DEP_2) | instskip(NEXT) | instid1(VALU_DEP_1)
	v_add_co_u32 v17, s0, s18, v17
	v_add_co_ci_u32_e64 v18, s0, s19, v18, s0
	s_delay_alu instid0(VALU_DEP_3) | instskip(NEXT) | instid1(VALU_DEP_1)
	v_add_co_u32 v19, s0, s18, v19
	v_add_co_ci_u32_e64 v20, s0, s19, v20, s0
	v_add_co_u32 v22, s0, s18, v13
	s_delay_alu instid0(VALU_DEP_1) | instskip(SKIP_3) | instid1(VALU_DEP_1)
	v_add_co_ci_u32_e64 v23, s0, s19, v14, s0
	s_waitcnt lgkmcnt(0)
	v_lshlrev_b64 v[13:14], 1, v[26:27]
	v_add_co_u32 v17, s0, v17, v24
	v_add_co_ci_u32_e64 v18, s0, v18, v25, s0
	s_delay_alu instid0(VALU_DEP_3) | instskip(NEXT) | instid1(VALU_DEP_1)
	v_add_co_u32 v26, s0, s18, v13
	v_add_co_ci_u32_e64 v27, s0, s19, v14, s0
	v_add_co_u32 v13, s0, v19, v24
	s_delay_alu instid0(VALU_DEP_1) | instskip(NEXT) | instid1(VALU_DEP_4)
	v_add_co_ci_u32_e64 v14, s0, v20, v25, s0
	v_add_co_u32 v19, s0, v26, v21
	s_delay_alu instid0(VALU_DEP_1) | instskip(SKIP_1) | instid1(VALU_DEP_1)
	v_add_co_ci_u32_e64 v20, s0, 0, v27, s0
	v_add_co_u32 v21, s0, v22, v42
	v_add_co_ci_u32_e64 v22, s0, 0, v23, s0
	s_clause 0x3
	global_store_b16 v[17:18], v30, off
	global_store_b16 v[13:14], v31, off offset:2048
	global_store_b16 v[19:20], v33, off
	global_store_b16 v[21:22], v28, off
	s_waitcnt vmcnt(0)
	s_waitcnt_vscnt null, 0x0
	s_barrier
	buffer_gl0_inv
	v_mad_i32_i24 v20, v5, 6, v29
	v_lshlrev_b64 v[18:19], 3, v[5:6]
	v_lshl_or_b32 v24, v5, 3, 0x2000
	v_lshlrev_b32_e32 v25, 3, v37
	v_lshlrev_b32_e32 v26, 3, v38
	ds_store_b64 v39, v[7:8] offset:2048
	ds_store_b64 v40, v[9:10] offset:2048
	;; [unrolled: 1-line block ×4, first 2 shown]
	s_waitcnt lgkmcnt(0)
	s_barrier
	buffer_gl0_inv
	ds_load_b64 v[2:3], v34
	ds_load_b64 v[11:12], v35
	ds_load_b64 v[13:14], v36
	ds_load_b64 v[16:17], v32
	ds_load_2addr_stride64_b64 v[7:10], v4 offset0:16 offset1:32
	ds_load_b64 v[20:21], v20 offset:2048
	ds_load_b64 v[22:23], v4 offset:24576
	s_waitcnt lgkmcnt(6)
	v_lshlrev_b64 v[2:3], 3, v[2:3]
	s_waitcnt lgkmcnt(5)
	v_lshlrev_b64 v[11:12], 3, v[11:12]
	s_waitcnt lgkmcnt(4)
	v_lshlrev_b64 v[13:14], 3, v[13:14]
	s_waitcnt lgkmcnt(3)
	v_lshlrev_b64 v[16:17], 3, v[16:17]
	v_add_co_u32 v2, s0, s22, v2
	s_delay_alu instid0(VALU_DEP_1) | instskip(SKIP_1) | instid1(VALU_DEP_1)
	v_add_co_ci_u32_e64 v3, s0, s23, v3, s0
	v_add_co_u32 v4, s0, s22, v11
	v_add_co_ci_u32_e64 v12, s0, s23, v12, s0
	v_add_co_u32 v13, s0, s22, v13
	s_delay_alu instid0(VALU_DEP_1) | instskip(SKIP_1) | instid1(VALU_DEP_1)
	v_add_co_ci_u32_e64 v14, s0, s23, v14, s0
	v_add_co_u32 v16, s0, s22, v16
	v_add_co_ci_u32_e64 v17, s0, s23, v17, s0
	;; [unrolled: 5-line block ×4, first 2 shown]
	s_waitcnt lgkmcnt(1)
	s_clause 0x2
	global_store_b64 v[2:3], v[20:21], off
	global_store_b64 v[11:12], v[7:8], off
	;; [unrolled: 1-line block ×3, first 2 shown]
	s_waitcnt lgkmcnt(0)
	global_store_b64 v[16:17], v[22:23], off
                                        ; implicit-def: $vgpr2_vgpr3
	s_and_saveexec_b32 s0, s1
; %bb.94:
	v_add_co_u32 v2, vcc_lo, v0, v15
	v_add_co_ci_u32_e32 v3, vcc_lo, 0, v1, vcc_lo
	s_or_b32 s8, s8, exec_lo
; %bb.95:
	s_or_b32 exec_lo, exec_lo, s0
.LBB24_96:
	s_and_saveexec_b32 s0, s8
	s_cbranch_execnz .LBB24_98
; %bb.97:
	s_nop 0
	s_sendmsg sendmsg(MSG_DEALLOC_VGPRS)
	s_endpgm
.LBB24_98:
	v_lshlrev_b32_e32 v0, 3, v5
	v_lshlrev_b64 v[4:5], 3, v[5:6]
	ds_load_b64 v[0:1], v0
	v_add_co_u32 v4, vcc_lo, s26, v4
	v_add_co_ci_u32_e32 v5, vcc_lo, s27, v5, vcc_lo
	s_waitcnt lgkmcnt(0)
	v_add_co_u32 v0, vcc_lo, v0, v2
	v_add_co_ci_u32_e32 v1, vcc_lo, v1, v3, vcc_lo
	global_store_b64 v[4:5], v[0:1], off
	s_nop 0
	s_sendmsg sendmsg(MSG_DEALLOC_VGPRS)
	s_endpgm
.LBB24_99:
	global_load_b64 v[6:7], v[1:2], off
	s_or_b32 exec_lo, exec_lo, s10
                                        ; implicit-def: $vgpr8_vgpr9
	s_and_saveexec_b32 s10, s2
	s_cbranch_execz .LBB24_47
.LBB24_100:
	global_load_b64 v[8:9], v[1:2], off offset:256
	s_or_b32 exec_lo, exec_lo, s10
                                        ; implicit-def: $vgpr10_vgpr11
	s_and_saveexec_b32 s2, s3
	s_cbranch_execz .LBB24_48
.LBB24_101:
	global_load_b64 v[10:11], v[1:2], off offset:512
	s_or_b32 exec_lo, exec_lo, s2
                                        ; implicit-def: $vgpr12_vgpr13
	s_and_saveexec_b32 s2, s4
	s_cbranch_execz .LBB24_49
.LBB24_102:
	global_load_b64 v[12:13], v[1:2], off offset:768
	s_or_b32 exec_lo, exec_lo, s2
                                        ; implicit-def: $vgpr1_vgpr2_vgpr3_vgpr4
	s_and_saveexec_b32 s2, s6
	s_cbranch_execz .LBB24_50
.LBB24_103:
	ds_load_u16 v1, v24 offset:2048
	s_waitcnt lgkmcnt(0)
	v_lshrrev_b32_e32 v1, s28, v1
	s_delay_alu instid0(VALU_DEP_1)
	v_and_b32_e32 v1, s33, v1
	s_or_b32 exec_lo, exec_lo, s2
	s_and_saveexec_b32 s2, s7
	s_cbranch_execz .LBB24_51
.LBB24_104:
	ds_load_u16 v2, v24 offset:4096
	s_waitcnt lgkmcnt(0)
	v_lshrrev_b32_e32 v2, s28, v2
	s_delay_alu instid0(VALU_DEP_1)
	v_and_b32_e32 v2, s33, v2
	s_or_b32 exec_lo, exec_lo, s2
	s_and_saveexec_b32 s2, s8
	s_cbranch_execz .LBB24_52
.LBB24_105:
	ds_load_u16 v3, v24 offset:6144
	s_waitcnt lgkmcnt(0)
	v_lshrrev_b32_e32 v3, s28, v3
	s_delay_alu instid0(VALU_DEP_1)
	v_and_b32_e32 v3, s33, v3
	s_or_b32 exec_lo, exec_lo, s2
	s_and_saveexec_b32 s2, s9
	s_cbranch_execnz .LBB24_53
	s_branch .LBB24_54
.LBB24_106:
	v_lshlrev_b32_e32 v1, 3, v1
	ds_load_b64 v[7:8], v1
	ds_load_b64 v[9:10], v6 offset:2048
	s_waitcnt lgkmcnt(1)
	v_lshlrev_b64 v[7:8], 3, v[7:8]
	s_delay_alu instid0(VALU_DEP_1) | instskip(NEXT) | instid1(VALU_DEP_2)
	v_add_co_u32 v1, vcc_lo, s22, v7
	v_add_co_ci_u32_e32 v8, vcc_lo, s23, v8, vcc_lo
	s_delay_alu instid0(VALU_DEP_2) | instskip(NEXT) | instid1(VALU_DEP_2)
	v_add_co_u32 v7, vcc_lo, v1, v6
	v_add_co_ci_u32_e32 v8, vcc_lo, 0, v8, vcc_lo
	s_waitcnt lgkmcnt(0)
	global_store_b64 v[7:8], v[9:10], off
	s_or_b32 exec_lo, exec_lo, s2
	s_and_saveexec_b32 s2, s7
	s_cbranch_execz .LBB24_56
.LBB24_107:
	v_lshlrev_b32_e32 v1, 3, v2
	v_lshlrev_b32_e32 v9, 3, v15
	ds_load_b64 v[1:2], v1
	ds_load_b64 v[7:8], v6 offset:10240
	s_waitcnt lgkmcnt(1)
	v_lshlrev_b64 v[1:2], 3, v[1:2]
	s_delay_alu instid0(VALU_DEP_1) | instskip(NEXT) | instid1(VALU_DEP_2)
	v_add_co_u32 v1, vcc_lo, s22, v1
	v_add_co_ci_u32_e32 v2, vcc_lo, s23, v2, vcc_lo
	s_delay_alu instid0(VALU_DEP_2) | instskip(NEXT) | instid1(VALU_DEP_2)
	v_add_co_u32 v1, vcc_lo, v1, v9
	v_add_co_ci_u32_e32 v2, vcc_lo, 0, v2, vcc_lo
	s_waitcnt lgkmcnt(0)
	global_store_b64 v[1:2], v[7:8], off
	s_or_b32 exec_lo, exec_lo, s2
	s_and_saveexec_b32 s2, s8
	s_cbranch_execz .LBB24_57
.LBB24_108:
	v_lshlrev_b32_e32 v1, 3, v3
	v_lshlrev_b32_e32 v3, 3, v21
	ds_load_b64 v[1:2], v1
	ds_load_b64 v[7:8], v6 offset:18432
	s_waitcnt lgkmcnt(1)
	v_lshlrev_b64 v[1:2], 3, v[1:2]
	s_delay_alu instid0(VALU_DEP_1) | instskip(NEXT) | instid1(VALU_DEP_2)
	v_add_co_u32 v1, vcc_lo, s22, v1
	v_add_co_ci_u32_e32 v2, vcc_lo, s23, v2, vcc_lo
	s_delay_alu instid0(VALU_DEP_2) | instskip(NEXT) | instid1(VALU_DEP_2)
	v_add_co_u32 v1, vcc_lo, v1, v3
	v_add_co_ci_u32_e32 v2, vcc_lo, 0, v2, vcc_lo
	s_waitcnt lgkmcnt(0)
	global_store_b64 v[1:2], v[7:8], off
	s_or_b32 exec_lo, exec_lo, s2
	s_and_saveexec_b32 s2, s9
	s_cbranch_execnz .LBB24_58
	s_branch .LBB24_59
	.section	.rodata,"a",@progbits
	.p2align	6, 0x0
	.amdhsa_kernel _ZN7rocprim17ROCPRIM_304000_NS6detail25onesweep_iteration_kernelINS1_34wrapped_radix_sort_onesweep_configINS0_14default_configEtN2at4cuda3cub6detail10OpaqueTypeILi8EEEEELb0EPKtPtPKSA_PSA_mNS0_19identity_decomposerEEEvT1_T2_T3_T4_jPT5_SO_PNS1_23onesweep_lookback_stateET6_jjj
		.amdhsa_group_segment_fixed_size 36992
		.amdhsa_private_segment_fixed_size 0
		.amdhsa_kernarg_size 336
		.amdhsa_user_sgpr_count 15
		.amdhsa_user_sgpr_dispatch_ptr 0
		.amdhsa_user_sgpr_queue_ptr 0
		.amdhsa_user_sgpr_kernarg_segment_ptr 1
		.amdhsa_user_sgpr_dispatch_id 0
		.amdhsa_user_sgpr_private_segment_size 0
		.amdhsa_wavefront_size32 1
		.amdhsa_uses_dynamic_stack 0
		.amdhsa_enable_private_segment 0
		.amdhsa_system_sgpr_workgroup_id_x 1
		.amdhsa_system_sgpr_workgroup_id_y 0
		.amdhsa_system_sgpr_workgroup_id_z 0
		.amdhsa_system_sgpr_workgroup_info 0
		.amdhsa_system_vgpr_workitem_id 2
		.amdhsa_next_free_vgpr 43
		.amdhsa_next_free_sgpr 36
		.amdhsa_reserve_vcc 1
		.amdhsa_float_round_mode_32 0
		.amdhsa_float_round_mode_16_64 0
		.amdhsa_float_denorm_mode_32 3
		.amdhsa_float_denorm_mode_16_64 3
		.amdhsa_dx10_clamp 1
		.amdhsa_ieee_mode 1
		.amdhsa_fp16_overflow 0
		.amdhsa_workgroup_processor_mode 1
		.amdhsa_memory_ordered 1
		.amdhsa_forward_progress 0
		.amdhsa_shared_vgpr_count 0
		.amdhsa_exception_fp_ieee_invalid_op 0
		.amdhsa_exception_fp_denorm_src 0
		.amdhsa_exception_fp_ieee_div_zero 0
		.amdhsa_exception_fp_ieee_overflow 0
		.amdhsa_exception_fp_ieee_underflow 0
		.amdhsa_exception_fp_ieee_inexact 0
		.amdhsa_exception_int_div_zero 0
	.end_amdhsa_kernel
	.section	.text._ZN7rocprim17ROCPRIM_304000_NS6detail25onesweep_iteration_kernelINS1_34wrapped_radix_sort_onesweep_configINS0_14default_configEtN2at4cuda3cub6detail10OpaqueTypeILi8EEEEELb0EPKtPtPKSA_PSA_mNS0_19identity_decomposerEEEvT1_T2_T3_T4_jPT5_SO_PNS1_23onesweep_lookback_stateET6_jjj,"axG",@progbits,_ZN7rocprim17ROCPRIM_304000_NS6detail25onesweep_iteration_kernelINS1_34wrapped_radix_sort_onesweep_configINS0_14default_configEtN2at4cuda3cub6detail10OpaqueTypeILi8EEEEELb0EPKtPtPKSA_PSA_mNS0_19identity_decomposerEEEvT1_T2_T3_T4_jPT5_SO_PNS1_23onesweep_lookback_stateET6_jjj,comdat
.Lfunc_end24:
	.size	_ZN7rocprim17ROCPRIM_304000_NS6detail25onesweep_iteration_kernelINS1_34wrapped_radix_sort_onesweep_configINS0_14default_configEtN2at4cuda3cub6detail10OpaqueTypeILi8EEEEELb0EPKtPtPKSA_PSA_mNS0_19identity_decomposerEEEvT1_T2_T3_T4_jPT5_SO_PNS1_23onesweep_lookback_stateET6_jjj, .Lfunc_end24-_ZN7rocprim17ROCPRIM_304000_NS6detail25onesweep_iteration_kernelINS1_34wrapped_radix_sort_onesweep_configINS0_14default_configEtN2at4cuda3cub6detail10OpaqueTypeILi8EEEEELb0EPKtPtPKSA_PSA_mNS0_19identity_decomposerEEEvT1_T2_T3_T4_jPT5_SO_PNS1_23onesweep_lookback_stateET6_jjj
                                        ; -- End function
	.section	.AMDGPU.csdata,"",@progbits
; Kernel info:
; codeLenInByte = 8992
; NumSgprs: 38
; NumVgprs: 43
; ScratchSize: 0
; MemoryBound: 0
; FloatMode: 240
; IeeeMode: 1
; LDSByteSize: 36992 bytes/workgroup (compile time only)
; SGPRBlocks: 4
; VGPRBlocks: 5
; NumSGPRsForWavesPerEU: 38
; NumVGPRsForWavesPerEU: 43
; Occupancy: 16
; WaveLimiterHint : 1
; COMPUTE_PGM_RSRC2:SCRATCH_EN: 0
; COMPUTE_PGM_RSRC2:USER_SGPR: 15
; COMPUTE_PGM_RSRC2:TRAP_HANDLER: 0
; COMPUTE_PGM_RSRC2:TGID_X_EN: 1
; COMPUTE_PGM_RSRC2:TGID_Y_EN: 0
; COMPUTE_PGM_RSRC2:TGID_Z_EN: 0
; COMPUTE_PGM_RSRC2:TIDIG_COMP_CNT: 2
	.section	.text._ZN7rocprim17ROCPRIM_304000_NS6detail25onesweep_iteration_kernelINS1_34wrapped_radix_sort_onesweep_configINS0_14default_configEtN2at4cuda3cub6detail10OpaqueTypeILi8EEEEELb0EPtSC_PSA_SD_mNS0_19identity_decomposerEEEvT1_T2_T3_T4_jPT5_SK_PNS1_23onesweep_lookback_stateET6_jjj,"axG",@progbits,_ZN7rocprim17ROCPRIM_304000_NS6detail25onesweep_iteration_kernelINS1_34wrapped_radix_sort_onesweep_configINS0_14default_configEtN2at4cuda3cub6detail10OpaqueTypeILi8EEEEELb0EPtSC_PSA_SD_mNS0_19identity_decomposerEEEvT1_T2_T3_T4_jPT5_SK_PNS1_23onesweep_lookback_stateET6_jjj,comdat
	.protected	_ZN7rocprim17ROCPRIM_304000_NS6detail25onesweep_iteration_kernelINS1_34wrapped_radix_sort_onesweep_configINS0_14default_configEtN2at4cuda3cub6detail10OpaqueTypeILi8EEEEELb0EPtSC_PSA_SD_mNS0_19identity_decomposerEEEvT1_T2_T3_T4_jPT5_SK_PNS1_23onesweep_lookback_stateET6_jjj ; -- Begin function _ZN7rocprim17ROCPRIM_304000_NS6detail25onesweep_iteration_kernelINS1_34wrapped_radix_sort_onesweep_configINS0_14default_configEtN2at4cuda3cub6detail10OpaqueTypeILi8EEEEELb0EPtSC_PSA_SD_mNS0_19identity_decomposerEEEvT1_T2_T3_T4_jPT5_SK_PNS1_23onesweep_lookback_stateET6_jjj
	.globl	_ZN7rocprim17ROCPRIM_304000_NS6detail25onesweep_iteration_kernelINS1_34wrapped_radix_sort_onesweep_configINS0_14default_configEtN2at4cuda3cub6detail10OpaqueTypeILi8EEEEELb0EPtSC_PSA_SD_mNS0_19identity_decomposerEEEvT1_T2_T3_T4_jPT5_SK_PNS1_23onesweep_lookback_stateET6_jjj
	.p2align	8
	.type	_ZN7rocprim17ROCPRIM_304000_NS6detail25onesweep_iteration_kernelINS1_34wrapped_radix_sort_onesweep_configINS0_14default_configEtN2at4cuda3cub6detail10OpaqueTypeILi8EEEEELb0EPtSC_PSA_SD_mNS0_19identity_decomposerEEEvT1_T2_T3_T4_jPT5_SK_PNS1_23onesweep_lookback_stateET6_jjj,@function
_ZN7rocprim17ROCPRIM_304000_NS6detail25onesweep_iteration_kernelINS1_34wrapped_radix_sort_onesweep_configINS0_14default_configEtN2at4cuda3cub6detail10OpaqueTypeILi8EEEEELb0EPtSC_PSA_SD_mNS0_19identity_decomposerEEEvT1_T2_T3_T4_jPT5_SK_PNS1_23onesweep_lookback_stateET6_jjj: ; @_ZN7rocprim17ROCPRIM_304000_NS6detail25onesweep_iteration_kernelINS1_34wrapped_radix_sort_onesweep_configINS0_14default_configEtN2at4cuda3cub6detail10OpaqueTypeILi8EEEEELb0EPtSC_PSA_SD_mNS0_19identity_decomposerEEEvT1_T2_T3_T4_jPT5_SK_PNS1_23onesweep_lookback_stateET6_jjj
; %bb.0:
	s_clause 0x3
	s_load_b128 s[28:31], s[0:1], 0x44
	s_load_b256 s[16:23], s[0:1], 0x0
	s_load_b128 s[24:27], s[0:1], 0x28
	s_load_b64 s[12:13], s[0:1], 0x38
	v_and_b32_e32 v5, 0x3ff, v0
	v_mbcnt_lo_u32_b32 v14, -1, 0
	s_waitcnt lgkmcnt(0)
	s_cmp_ge_u32 s15, s30
	s_cbranch_scc0 .LBB25_62
; %bb.1:
	s_load_b32 s4, s[0:1], 0x20
	v_dual_mov_b32 v11, -1 :: v_dual_lshlrev_b32 v16, 2, v5
	s_lshl_b32 s5, s30, 12
	s_lshl_b32 s30, s15, 12
	s_mov_b32 s31, 0
	s_delay_alu instid0(VALU_DEP_1) | instskip(SKIP_2) | instid1(VALU_DEP_2)
	v_and_b32_e32 v10, 0xf80, v16
	v_dual_mov_b32 v12, -1 :: v_dual_lshlrev_b32 v1, 1, v14
	s_lshl_b64 s[2:3], s[30:31], 1
	v_lshlrev_b32_e32 v2, 1, v10
	v_or_b32_e32 v3, v14, v10
	s_waitcnt lgkmcnt(0)
	s_sub_i32 s34, s4, s5
	s_add_u32 s2, s16, s2
	s_addc_u32 s3, s17, s3
	v_add_co_u32 v1, s2, s2, v1
	s_delay_alu instid0(VALU_DEP_1) | instskip(SKIP_1) | instid1(VALU_DEP_3)
	v_add_co_ci_u32_e64 v4, null, s3, 0, s2
	v_cmp_gt_u32_e32 vcc_lo, s34, v3
	v_add_co_u32 v1, s2, v1, v2
	s_delay_alu instid0(VALU_DEP_1)
	v_add_co_ci_u32_e64 v2, s2, 0, v4, s2
	s_and_saveexec_b32 s2, vcc_lo
	s_cbranch_execz .LBB25_3
; %bb.2:
	global_load_u16 v12, v[1:2], off
.LBB25_3:
	s_or_b32 exec_lo, exec_lo, s2
	v_add_nc_u32_e32 v4, 32, v3
	s_delay_alu instid0(VALU_DEP_1) | instskip(NEXT) | instid1(VALU_DEP_1)
	v_cmp_gt_u32_e64 s2, s34, v4
	s_and_saveexec_b32 s3, s2
	s_cbranch_execz .LBB25_5
; %bb.4:
	global_load_u16 v11, v[1:2], off offset:64
.LBB25_5:
	s_or_b32 exec_lo, exec_lo, s3
	v_dual_mov_b32 v13, -1 :: v_dual_add_nc_u32 v4, 64, v3
	v_mov_b32_e32 v15, -1
	s_delay_alu instid0(VALU_DEP_2) | instskip(NEXT) | instid1(VALU_DEP_1)
	v_cmp_gt_u32_e64 s3, s34, v4
	s_and_saveexec_b32 s4, s3
	s_cbranch_execz .LBB25_7
; %bb.6:
	global_load_u16 v15, v[1:2], off offset:128
.LBB25_7:
	s_or_b32 exec_lo, exec_lo, s4
	v_add_nc_u32_e32 v3, 0x60, v3
	s_delay_alu instid0(VALU_DEP_1) | instskip(NEXT) | instid1(VALU_DEP_1)
	v_cmp_gt_u32_e64 s4, s34, v3
	s_and_saveexec_b32 s5, s4
	s_cbranch_execz .LBB25_9
; %bb.8:
	global_load_u16 v13, v[1:2], off offset:192
.LBB25_9:
	s_or_b32 exec_lo, exec_lo, s5
	s_clause 0x1
	s_load_b32 s5, s[0:1], 0x5c
	s_load_b32 s14, s[0:1], 0x50
	s_add_u32 s6, s0, 0x50
	s_addc_u32 s7, s1, 0
	s_waitcnt vmcnt(0)
	v_and_b32_e32 v1, 0xffff, v12
	s_delay_alu instid0(VALU_DEP_1) | instskip(SKIP_4) | instid1(SALU_CYCLE_1)
	v_lshrrev_b32_e32 v1, s28, v1
	s_waitcnt lgkmcnt(0)
	s_lshr_b32 s8, s5, 16
	s_cmp_lt_u32 s15, s14
	s_cselect_b32 s5, 12, 18
	s_add_u32 s6, s6, s5
	s_addc_u32 s7, s7, 0
	s_lshl_b32 s5, -1, s29
	s_delay_alu instid0(SALU_CYCLE_1) | instskip(NEXT) | instid1(SALU_CYCLE_1)
	s_not_b32 s33, s5
	v_dual_mov_b32 v3, 0 :: v_dual_and_b32 v6, s33, v1
	v_bfe_u32 v1, v0, 10, 10
	global_load_u16 v4, v3, s[6:7]
	v_and_b32_e32 v2, 1, v6
	v_lshlrev_b32_e32 v7, 30, v6
	v_lshlrev_b32_e32 v8, 29, v6
	;; [unrolled: 1-line block ×4, first 2 shown]
	v_add_co_u32 v2, s5, v2, -1
	s_delay_alu instid0(VALU_DEP_1)
	v_cndmask_b32_e64 v17, 0, 1, s5
	v_not_b32_e32 v21, v7
	v_cmp_gt_i32_e64 s6, 0, v7
	v_not_b32_e32 v7, v8
	v_lshlrev_b32_e32 v19, 26, v6
	v_cmp_ne_u32_e64 s5, 0, v17
	v_ashrrev_i32_e32 v21, 31, v21
	v_lshlrev_b32_e32 v20, 25, v6
	v_ashrrev_i32_e32 v7, 31, v7
	v_lshlrev_b32_e32 v17, 24, v6
	v_xor_b32_e32 v2, s5, v2
	v_cmp_gt_i32_e64 s5, 0, v8
	v_not_b32_e32 v8, v9
	v_xor_b32_e32 v21, s6, v21
	v_cmp_gt_i32_e64 s6, 0, v9
	v_and_b32_e32 v2, exec_lo, v2
	v_not_b32_e32 v9, v18
	v_ashrrev_i32_e32 v8, 31, v8
	v_xor_b32_e32 v7, s5, v7
	v_cmp_gt_i32_e64 s5, 0, v18
	v_and_b32_e32 v2, v2, v21
	v_not_b32_e32 v18, v19
	v_ashrrev_i32_e32 v9, 31, v9
	v_xor_b32_e32 v8, s6, v8
	v_cmp_gt_i32_e64 s6, 0, v19
	v_and_b32_e32 v2, v2, v7
	v_not_b32_e32 v7, v20
	v_ashrrev_i32_e32 v18, 31, v18
	v_xor_b32_e32 v9, s5, v9
	v_cmp_gt_i32_e64 s5, 0, v20
	v_and_b32_e32 v2, v2, v8
	v_not_b32_e32 v8, v17
	v_ashrrev_i32_e32 v7, 31, v7
	v_xor_b32_e32 v18, s6, v18
	v_cmp_gt_i32_e64 s6, 0, v17
	v_and_b32_e32 v2, v2, v9
	v_bfe_u32 v9, v0, 20, 10
	v_ashrrev_i32_e32 v8, 31, v8
	v_xor_b32_e32 v7, s5, v7
	v_mul_u32_u24_e32 v17, 9, v5
	v_and_b32_e32 v2, v2, v18
	v_mad_u32_u24 v9, v9, s8, v1
	v_xor_b32_e32 v8, s6, v8
	s_delay_alu instid0(VALU_DEP_4) | instskip(NEXT) | instid1(VALU_DEP_4)
	v_lshlrev_b32_e32 v18, 2, v17
	v_and_b32_e32 v7, v2, v7
	ds_store_2addr_b32 v18, v3, v3 offset0:32 offset1:33
	ds_store_2addr_b32 v18, v3, v3 offset0:34 offset1:35
	;; [unrolled: 1-line block ×4, first 2 shown]
	ds_store_b32 v18, v3 offset:160
	v_mul_u32_u24_e32 v3, 33, v6
	s_waitcnt vmcnt(0) lgkmcnt(0)
	s_barrier
	buffer_gl0_inv
	; wave barrier
	v_mad_u64_u32 v[1:2], null, v9, v4, v[5:6]
	v_and_b32_e32 v2, v7, v8
	s_delay_alu instid0(VALU_DEP_1) | instskip(NEXT) | instid1(VALU_DEP_3)
	v_mbcnt_lo_u32_b32 v17, v2, 0
	v_lshrrev_b32_e32 v1, 5, v1
	v_cmp_ne_u32_e64 s6, 0, v2
	s_delay_alu instid0(VALU_DEP_3) | instskip(NEXT) | instid1(VALU_DEP_3)
	v_cmp_eq_u32_e64 s5, 0, v17
	v_add_lshl_u32 v19, v1, v3, 2
	s_delay_alu instid0(VALU_DEP_2) | instskip(NEXT) | instid1(SALU_CYCLE_1)
	s_and_b32 s6, s6, s5
	s_and_saveexec_b32 s5, s6
	s_cbranch_execz .LBB25_11
; %bb.10:
	v_bcnt_u32_b32 v2, v2, 0
	ds_store_b32 v19, v2 offset:128
.LBB25_11:
	s_or_b32 exec_lo, exec_lo, s5
	v_and_b32_e32 v2, 0xffff, v11
	; wave barrier
	s_delay_alu instid0(VALU_DEP_1) | instskip(NEXT) | instid1(VALU_DEP_1)
	v_lshrrev_b32_e32 v2, s28, v2
	v_and_b32_e32 v2, s33, v2
	s_delay_alu instid0(VALU_DEP_1)
	v_and_b32_e32 v3, 1, v2
	v_lshlrev_b32_e32 v4, 30, v2
	v_lshlrev_b32_e32 v6, 29, v2
	;; [unrolled: 1-line block ×4, first 2 shown]
	v_add_co_u32 v3, s5, v3, -1
	s_delay_alu instid0(VALU_DEP_1)
	v_cndmask_b32_e64 v8, 0, 1, s5
	v_not_b32_e32 v22, v4
	v_cmp_gt_i32_e64 s6, 0, v4
	v_not_b32_e32 v4, v6
	v_lshlrev_b32_e32 v20, 26, v2
	v_cmp_ne_u32_e64 s5, 0, v8
	v_ashrrev_i32_e32 v22, 31, v22
	v_lshlrev_b32_e32 v21, 25, v2
	v_ashrrev_i32_e32 v4, 31, v4
	v_lshlrev_b32_e32 v8, 24, v2
	v_xor_b32_e32 v3, s5, v3
	v_cmp_gt_i32_e64 s5, 0, v6
	v_not_b32_e32 v6, v7
	v_xor_b32_e32 v22, s6, v22
	v_cmp_gt_i32_e64 s6, 0, v7
	v_and_b32_e32 v3, exec_lo, v3
	v_not_b32_e32 v7, v9
	v_ashrrev_i32_e32 v6, 31, v6
	v_xor_b32_e32 v4, s5, v4
	v_cmp_gt_i32_e64 s5, 0, v9
	v_and_b32_e32 v3, v3, v22
	v_not_b32_e32 v9, v20
	v_ashrrev_i32_e32 v7, 31, v7
	v_xor_b32_e32 v6, s6, v6
	v_cmp_gt_i32_e64 s6, 0, v20
	v_and_b32_e32 v3, v3, v4
	;; [unrolled: 5-line block ×3, first 2 shown]
	v_not_b32_e32 v6, v8
	v_ashrrev_i32_e32 v4, 31, v4
	v_xor_b32_e32 v9, s6, v9
	v_mul_u32_u24_e32 v2, 33, v2
	v_and_b32_e32 v3, v3, v7
	v_cmp_gt_i32_e64 s6, 0, v8
	v_ashrrev_i32_e32 v6, 31, v6
	v_xor_b32_e32 v4, s5, v4
	v_add_lshl_u32 v22, v1, v2, 2
	v_and_b32_e32 v3, v3, v9
	s_delay_alu instid0(VALU_DEP_4) | instskip(SKIP_2) | instid1(VALU_DEP_1)
	v_xor_b32_e32 v2, s6, v6
	ds_load_b32 v20, v22 offset:128
	v_and_b32_e32 v3, v3, v4
	; wave barrier
	v_and_b32_e32 v2, v3, v2
	s_delay_alu instid0(VALU_DEP_1) | instskip(SKIP_1) | instid1(VALU_DEP_2)
	v_mbcnt_lo_u32_b32 v21, v2, 0
	v_cmp_ne_u32_e64 s6, 0, v2
	v_cmp_eq_u32_e64 s5, 0, v21
	s_delay_alu instid0(VALU_DEP_1) | instskip(NEXT) | instid1(SALU_CYCLE_1)
	s_and_b32 s6, s6, s5
	s_and_saveexec_b32 s5, s6
	s_cbranch_execz .LBB25_13
; %bb.12:
	s_waitcnt lgkmcnt(0)
	v_bcnt_u32_b32 v2, v2, v20
	ds_store_b32 v22, v2 offset:128
.LBB25_13:
	s_or_b32 exec_lo, exec_lo, s5
	v_and_b32_e32 v2, 0xffff, v15
	; wave barrier
	s_delay_alu instid0(VALU_DEP_1) | instskip(NEXT) | instid1(VALU_DEP_1)
	v_lshrrev_b32_e32 v2, s28, v2
	v_and_b32_e32 v2, s33, v2
	s_delay_alu instid0(VALU_DEP_1)
	v_and_b32_e32 v3, 1, v2
	v_lshlrev_b32_e32 v4, 30, v2
	v_lshlrev_b32_e32 v6, 29, v2
	;; [unrolled: 1-line block ×4, first 2 shown]
	v_add_co_u32 v3, s5, v3, -1
	s_delay_alu instid0(VALU_DEP_1)
	v_cndmask_b32_e64 v8, 0, 1, s5
	v_not_b32_e32 v25, v4
	v_cmp_gt_i32_e64 s6, 0, v4
	v_not_b32_e32 v4, v6
	v_lshlrev_b32_e32 v23, 26, v2
	v_cmp_ne_u32_e64 s5, 0, v8
	v_ashrrev_i32_e32 v25, 31, v25
	v_lshlrev_b32_e32 v24, 25, v2
	v_ashrrev_i32_e32 v4, 31, v4
	v_lshlrev_b32_e32 v8, 24, v2
	v_xor_b32_e32 v3, s5, v3
	v_cmp_gt_i32_e64 s5, 0, v6
	v_not_b32_e32 v6, v7
	v_xor_b32_e32 v25, s6, v25
	v_cmp_gt_i32_e64 s6, 0, v7
	v_and_b32_e32 v3, exec_lo, v3
	v_not_b32_e32 v7, v9
	v_ashrrev_i32_e32 v6, 31, v6
	v_xor_b32_e32 v4, s5, v4
	v_cmp_gt_i32_e64 s5, 0, v9
	v_and_b32_e32 v3, v3, v25
	v_not_b32_e32 v9, v23
	v_ashrrev_i32_e32 v7, 31, v7
	v_xor_b32_e32 v6, s6, v6
	v_cmp_gt_i32_e64 s6, 0, v23
	v_and_b32_e32 v3, v3, v4
	;; [unrolled: 5-line block ×3, first 2 shown]
	v_not_b32_e32 v6, v8
	v_ashrrev_i32_e32 v4, 31, v4
	v_xor_b32_e32 v9, s6, v9
	v_mul_u32_u24_e32 v2, 33, v2
	v_and_b32_e32 v3, v3, v7
	v_cmp_gt_i32_e64 s6, 0, v8
	v_ashrrev_i32_e32 v6, 31, v6
	v_xor_b32_e32 v4, s5, v4
	v_add_lshl_u32 v25, v1, v2, 2
	v_and_b32_e32 v3, v3, v9
	s_delay_alu instid0(VALU_DEP_4) | instskip(SKIP_2) | instid1(VALU_DEP_1)
	v_xor_b32_e32 v2, s6, v6
	ds_load_b32 v23, v25 offset:128
	v_and_b32_e32 v3, v3, v4
	; wave barrier
	v_and_b32_e32 v2, v3, v2
	s_delay_alu instid0(VALU_DEP_1) | instskip(SKIP_1) | instid1(VALU_DEP_2)
	v_mbcnt_lo_u32_b32 v24, v2, 0
	v_cmp_ne_u32_e64 s6, 0, v2
	v_cmp_eq_u32_e64 s5, 0, v24
	s_delay_alu instid0(VALU_DEP_1) | instskip(NEXT) | instid1(SALU_CYCLE_1)
	s_and_b32 s6, s6, s5
	s_and_saveexec_b32 s5, s6
	s_cbranch_execz .LBB25_15
; %bb.14:
	s_waitcnt lgkmcnt(0)
	v_bcnt_u32_b32 v2, v2, v23
	ds_store_b32 v25, v2 offset:128
.LBB25_15:
	s_or_b32 exec_lo, exec_lo, s5
	v_and_b32_e32 v2, 0xffff, v13
	; wave barrier
	v_add_nc_u32_e32 v29, 0x80, v18
	s_delay_alu instid0(VALU_DEP_2) | instskip(NEXT) | instid1(VALU_DEP_1)
	v_lshrrev_b32_e32 v2, s28, v2
	v_and_b32_e32 v2, s33, v2
	s_delay_alu instid0(VALU_DEP_1)
	v_and_b32_e32 v3, 1, v2
	v_lshlrev_b32_e32 v4, 30, v2
	v_lshlrev_b32_e32 v6, 29, v2
	;; [unrolled: 1-line block ×4, first 2 shown]
	v_add_co_u32 v3, s5, v3, -1
	s_delay_alu instid0(VALU_DEP_1)
	v_cndmask_b32_e64 v8, 0, 1, s5
	v_not_b32_e32 v28, v4
	v_cmp_gt_i32_e64 s6, 0, v4
	v_not_b32_e32 v4, v6
	v_lshlrev_b32_e32 v26, 26, v2
	v_cmp_ne_u32_e64 s5, 0, v8
	v_ashrrev_i32_e32 v28, 31, v28
	v_lshlrev_b32_e32 v27, 25, v2
	v_ashrrev_i32_e32 v4, 31, v4
	v_lshlrev_b32_e32 v8, 24, v2
	v_xor_b32_e32 v3, s5, v3
	v_cmp_gt_i32_e64 s5, 0, v6
	v_not_b32_e32 v6, v7
	v_xor_b32_e32 v28, s6, v28
	v_cmp_gt_i32_e64 s6, 0, v7
	v_and_b32_e32 v3, exec_lo, v3
	v_not_b32_e32 v7, v9
	v_ashrrev_i32_e32 v6, 31, v6
	v_xor_b32_e32 v4, s5, v4
	v_cmp_gt_i32_e64 s5, 0, v9
	v_and_b32_e32 v3, v3, v28
	v_not_b32_e32 v9, v26
	v_ashrrev_i32_e32 v7, 31, v7
	v_xor_b32_e32 v6, s6, v6
	v_cmp_gt_i32_e64 s6, 0, v26
	v_and_b32_e32 v3, v3, v4
	;; [unrolled: 5-line block ×3, first 2 shown]
	v_not_b32_e32 v6, v8
	v_ashrrev_i32_e32 v4, 31, v4
	v_xor_b32_e32 v9, s6, v9
	v_mul_u32_u24_e32 v2, 33, v2
	v_and_b32_e32 v3, v3, v7
	v_cmp_gt_i32_e64 s6, 0, v8
	v_ashrrev_i32_e32 v6, 31, v6
	v_xor_b32_e32 v4, s5, v4
	v_add_lshl_u32 v28, v1, v2, 2
	v_and_b32_e32 v3, v3, v9
	s_delay_alu instid0(VALU_DEP_4) | instskip(SKIP_2) | instid1(VALU_DEP_1)
	v_xor_b32_e32 v1, s6, v6
	ds_load_b32 v26, v28 offset:128
	v_and_b32_e32 v2, v3, v4
	; wave barrier
	v_and_b32_e32 v1, v2, v1
	s_delay_alu instid0(VALU_DEP_1) | instskip(SKIP_1) | instid1(VALU_DEP_2)
	v_mbcnt_lo_u32_b32 v27, v1, 0
	v_cmp_ne_u32_e64 s6, 0, v1
	v_cmp_eq_u32_e64 s5, 0, v27
	s_delay_alu instid0(VALU_DEP_1) | instskip(NEXT) | instid1(SALU_CYCLE_1)
	s_and_b32 s6, s6, s5
	s_and_saveexec_b32 s5, s6
	s_cbranch_execz .LBB25_17
; %bb.16:
	s_waitcnt lgkmcnt(0)
	v_bcnt_u32_b32 v1, v1, v26
	ds_store_b32 v28, v1 offset:128
.LBB25_17:
	s_or_b32 exec_lo, exec_lo, s5
	; wave barrier
	s_waitcnt lgkmcnt(0)
	s_barrier
	buffer_gl0_inv
	ds_load_2addr_b32 v[8:9], v18 offset0:32 offset1:33
	ds_load_2addr_b32 v[6:7], v29 offset0:2 offset1:3
	;; [unrolled: 1-line block ×4, first 2 shown]
	ds_load_b32 v30, v29 offset:32
	v_and_b32_e32 v33, 16, v14
	v_and_b32_e32 v34, 31, v5
	s_mov_b32 s11, exec_lo
	s_delay_alu instid0(VALU_DEP_2) | instskip(SKIP_3) | instid1(VALU_DEP_1)
	v_cmp_eq_u32_e64 s9, 0, v33
	s_waitcnt lgkmcnt(3)
	v_add3_u32 v31, v9, v8, v6
	s_waitcnt lgkmcnt(2)
	v_add3_u32 v31, v31, v7, v3
	s_waitcnt lgkmcnt(1)
	s_delay_alu instid0(VALU_DEP_1) | instskip(SKIP_1) | instid1(VALU_DEP_1)
	v_add3_u32 v31, v31, v4, v1
	s_waitcnt lgkmcnt(0)
	v_add3_u32 v30, v31, v2, v30
	v_and_b32_e32 v31, 15, v14
	s_delay_alu instid0(VALU_DEP_2) | instskip(NEXT) | instid1(VALU_DEP_2)
	v_mov_b32_dpp v32, v30 row_shr:1 row_mask:0xf bank_mask:0xf
	v_cmp_eq_u32_e64 s5, 0, v31
	v_cmp_lt_u32_e64 s6, 1, v31
	v_cmp_lt_u32_e64 s7, 3, v31
	;; [unrolled: 1-line block ×3, first 2 shown]
	s_delay_alu instid0(VALU_DEP_4) | instskip(NEXT) | instid1(VALU_DEP_1)
	v_cndmask_b32_e64 v32, v32, 0, s5
	v_add_nc_u32_e32 v30, v32, v30
	s_delay_alu instid0(VALU_DEP_1) | instskip(NEXT) | instid1(VALU_DEP_1)
	v_mov_b32_dpp v32, v30 row_shr:2 row_mask:0xf bank_mask:0xf
	v_cndmask_b32_e64 v32, 0, v32, s6
	s_delay_alu instid0(VALU_DEP_1) | instskip(NEXT) | instid1(VALU_DEP_1)
	v_add_nc_u32_e32 v30, v30, v32
	v_mov_b32_dpp v32, v30 row_shr:4 row_mask:0xf bank_mask:0xf
	s_delay_alu instid0(VALU_DEP_1) | instskip(NEXT) | instid1(VALU_DEP_1)
	v_cndmask_b32_e64 v32, 0, v32, s7
	v_add_nc_u32_e32 v30, v30, v32
	s_delay_alu instid0(VALU_DEP_1) | instskip(NEXT) | instid1(VALU_DEP_1)
	v_mov_b32_dpp v32, v30 row_shr:8 row_mask:0xf bank_mask:0xf
	v_cndmask_b32_e64 v31, 0, v32, s8
	v_bfe_i32 v32, v14, 4, 1
	s_delay_alu instid0(VALU_DEP_2) | instskip(SKIP_4) | instid1(VALU_DEP_2)
	v_add_nc_u32_e32 v30, v30, v31
	ds_swizzle_b32 v31, v30 offset:swizzle(BROADCAST,32,15)
	s_waitcnt lgkmcnt(0)
	v_and_b32_e32 v32, v32, v31
	v_lshrrev_b32_e32 v31, 5, v5
	v_add_nc_u32_e32 v30, v30, v32
	v_cmpx_eq_u32_e32 31, v34
	s_cbranch_execz .LBB25_19
; %bb.18:
	s_delay_alu instid0(VALU_DEP_3)
	v_lshlrev_b32_e32 v32, 2, v31
	ds_store_b32 v32, v30
.LBB25_19:
	s_or_b32 exec_lo, exec_lo, s11
	v_cmp_lt_u32_e64 s10, 31, v5
	s_mov_b32 s35, exec_lo
	s_waitcnt lgkmcnt(0)
	s_barrier
	buffer_gl0_inv
	v_cmpx_gt_u32_e32 32, v5
	s_cbranch_execz .LBB25_21
; %bb.20:
	ds_load_b32 v32, v16
	s_waitcnt lgkmcnt(0)
	v_mov_b32_dpp v33, v32 row_shr:1 row_mask:0xf bank_mask:0xf
	s_delay_alu instid0(VALU_DEP_1) | instskip(NEXT) | instid1(VALU_DEP_1)
	v_cndmask_b32_e64 v33, v33, 0, s5
	v_add_nc_u32_e32 v32, v33, v32
	s_delay_alu instid0(VALU_DEP_1) | instskip(NEXT) | instid1(VALU_DEP_1)
	v_mov_b32_dpp v33, v32 row_shr:2 row_mask:0xf bank_mask:0xf
	v_cndmask_b32_e64 v33, 0, v33, s6
	s_delay_alu instid0(VALU_DEP_1) | instskip(NEXT) | instid1(VALU_DEP_1)
	v_add_nc_u32_e32 v32, v32, v33
	v_mov_b32_dpp v33, v32 row_shr:4 row_mask:0xf bank_mask:0xf
	s_delay_alu instid0(VALU_DEP_1) | instskip(NEXT) | instid1(VALU_DEP_1)
	v_cndmask_b32_e64 v33, 0, v33, s7
	v_add_nc_u32_e32 v32, v32, v33
	s_delay_alu instid0(VALU_DEP_1) | instskip(NEXT) | instid1(VALU_DEP_1)
	v_mov_b32_dpp v33, v32 row_shr:8 row_mask:0xf bank_mask:0xf
	v_cndmask_b32_e64 v33, 0, v33, s8
	s_delay_alu instid0(VALU_DEP_1) | instskip(SKIP_3) | instid1(VALU_DEP_1)
	v_add_nc_u32_e32 v32, v32, v33
	ds_swizzle_b32 v33, v32 offset:swizzle(BROADCAST,32,15)
	s_waitcnt lgkmcnt(0)
	v_cndmask_b32_e64 v33, v33, 0, s9
	v_add_nc_u32_e32 v32, v32, v33
	ds_store_b32 v16, v32
.LBB25_21:
	s_or_b32 exec_lo, exec_lo, s35
	v_mov_b32_e32 v16, 0
	s_waitcnt lgkmcnt(0)
	s_barrier
	buffer_gl0_inv
	s_and_saveexec_b32 s5, s10
	s_cbranch_execz .LBB25_23
; %bb.22:
	v_lshl_add_u32 v16, v31, 2, -4
	ds_load_b32 v16, v16
.LBB25_23:
	s_or_b32 exec_lo, exec_lo, s5
	v_add_nc_u32_e32 v31, -1, v14
	s_waitcnt lgkmcnt(0)
	v_add_nc_u32_e32 v30, v16, v30
	s_delay_alu instid0(VALU_DEP_2) | instskip(NEXT) | instid1(VALU_DEP_1)
	v_cmp_gt_i32_e64 s5, 0, v31
	v_cndmask_b32_e64 v31, v31, v14, s5
	v_cmp_eq_u32_e64 s5, 0, v14
	s_delay_alu instid0(VALU_DEP_2) | instskip(SKIP_4) | instid1(VALU_DEP_1)
	v_lshlrev_b32_e32 v31, 2, v31
	ds_bpermute_b32 v30, v31, v30
	s_waitcnt lgkmcnt(0)
	v_cndmask_b32_e64 v16, v30, v16, s5
	v_cmp_ne_u32_e64 s5, 0, v5
	v_cndmask_b32_e64 v16, 0, v16, s5
	v_cmp_gt_u32_e64 s5, 0x100, v5
	s_delay_alu instid0(VALU_DEP_2) | instskip(NEXT) | instid1(VALU_DEP_1)
	v_add_nc_u32_e32 v8, v16, v8
	v_add_nc_u32_e32 v9, v8, v9
	s_delay_alu instid0(VALU_DEP_1) | instskip(NEXT) | instid1(VALU_DEP_1)
	v_add_nc_u32_e32 v6, v9, v6
	v_add_nc_u32_e32 v7, v6, v7
	s_delay_alu instid0(VALU_DEP_1) | instskip(NEXT) | instid1(VALU_DEP_1)
	v_add_nc_u32_e32 v3, v7, v3
	v_add_nc_u32_e32 v4, v3, v4
	s_delay_alu instid0(VALU_DEP_1) | instskip(NEXT) | instid1(VALU_DEP_1)
	v_add_nc_u32_e32 v1, v4, v1
	v_add_nc_u32_e32 v2, v1, v2
	ds_store_2addr_b32 v18, v16, v8 offset0:32 offset1:33
	ds_store_2addr_b32 v29, v9, v6 offset0:2 offset1:3
	;; [unrolled: 1-line block ×4, first 2 shown]
	ds_store_b32 v29, v2 offset:32
	s_waitcnt lgkmcnt(0)
	s_barrier
	buffer_gl0_inv
	ds_load_b32 v1, v19 offset:128
	ds_load_b32 v2, v22 offset:128
	;; [unrolled: 1-line block ×4, first 2 shown]
                                        ; implicit-def: $vgpr16
                                        ; implicit-def: $vgpr18
	s_and_saveexec_b32 s7, s5
	s_cbranch_execz .LBB25_27
; %bb.24:
	v_mul_u32_u24_e32 v6, 33, v5
	s_mov_b32 s8, exec_lo
	s_delay_alu instid0(VALU_DEP_1)
	v_dual_mov_b32 v6, 0x1000 :: v_dual_lshlrev_b32 v7, 2, v6
	ds_load_b32 v16, v7 offset:128
	v_cmpx_ne_u32_e32 0xff, v5
	s_cbranch_execz .LBB25_26
; %bb.25:
	ds_load_b32 v6, v7 offset:260
.LBB25_26:
	s_or_b32 exec_lo, exec_lo, s8
	s_waitcnt lgkmcnt(0)
	v_sub_nc_u32_e32 v18, v6, v16
.LBB25_27:
	s_or_b32 exec_lo, exec_lo, s7
	s_waitcnt lgkmcnt(3)
	v_add_nc_u32_e32 v22, v1, v17
	s_waitcnt lgkmcnt(2)
	v_add3_u32 v20, v21, v20, v2
	s_waitcnt lgkmcnt(1)
	v_add3_u32 v19, v24, v23, v3
	;; [unrolled: 2-line block ×3, first 2 shown]
	v_lshlrev_b32_e32 v1, 1, v22
	v_lshlrev_b32_e32 v2, 1, v20
	;; [unrolled: 1-line block ×3, first 2 shown]
	s_delay_alu instid0(VALU_DEP_4)
	v_lshlrev_b32_e32 v4, 1, v17
	s_barrier
	buffer_gl0_inv
	ds_store_b16 v1, v12 offset:2048
	ds_store_b16 v2, v11 offset:2048
	;; [unrolled: 1-line block ×4, first 2 shown]
	s_waitcnt lgkmcnt(0)
	s_barrier
	buffer_gl0_inv
	s_and_saveexec_b32 s7, s5
	s_cbranch_execz .LBB25_37
; %bb.28:
	v_lshl_or_b32 v3, s15, 8, v5
	v_mov_b32_e32 v4, 0
	v_mov_b32_e32 v8, 0
	s_mov_b32 s8, 0
	s_mov_b32 s9, s15
	s_delay_alu instid0(VALU_DEP_2) | instskip(SKIP_1) | instid1(VALU_DEP_2)
	v_lshlrev_b64 v[1:2], 2, v[3:4]
	v_or_b32_e32 v3, 2.0, v18
	v_add_co_u32 v1, s6, s12, v1
	s_delay_alu instid0(VALU_DEP_1)
	v_add_co_ci_u32_e64 v2, s6, s13, v2, s6
                                        ; implicit-def: $sgpr6
	global_store_b32 v[1:2], v3, off
	s_branch .LBB25_30
	.p2align	6
.LBB25_29:                              ;   in Loop: Header=BB25_30 Depth=1
	s_or_b32 exec_lo, exec_lo, s10
	v_and_b32_e32 v6, 0x3fffffff, v9
	v_cmp_eq_u32_e64 s6, 0x80000000, v3
	s_delay_alu instid0(VALU_DEP_2) | instskip(NEXT) | instid1(VALU_DEP_2)
	v_add_nc_u32_e32 v8, v6, v8
	s_and_b32 s10, exec_lo, s6
	s_delay_alu instid0(SALU_CYCLE_1) | instskip(NEXT) | instid1(SALU_CYCLE_1)
	s_or_b32 s8, s10, s8
	s_and_not1_b32 exec_lo, exec_lo, s8
	s_cbranch_execz .LBB25_36
.LBB25_30:                              ; =>This Loop Header: Depth=1
                                        ;     Child Loop BB25_33 Depth 2
	s_or_b32 s6, s6, exec_lo
	s_cmp_eq_u32 s9, 0
	s_cbranch_scc1 .LBB25_35
; %bb.31:                               ;   in Loop: Header=BB25_30 Depth=1
	s_add_i32 s9, s9, -1
	s_mov_b32 s10, exec_lo
	v_lshl_or_b32 v3, s9, 8, v5
	s_delay_alu instid0(VALU_DEP_1) | instskip(NEXT) | instid1(VALU_DEP_1)
	v_lshlrev_b64 v[6:7], 2, v[3:4]
	v_add_co_u32 v6, s6, s12, v6
	s_delay_alu instid0(VALU_DEP_1) | instskip(SKIP_3) | instid1(VALU_DEP_1)
	v_add_co_ci_u32_e64 v7, s6, s13, v7, s6
	global_load_b32 v9, v[6:7], off glc
	s_waitcnt vmcnt(0)
	v_and_b32_e32 v3, -2.0, v9
	v_cmpx_eq_u32_e32 0, v3
	s_cbranch_execz .LBB25_29
; %bb.32:                               ;   in Loop: Header=BB25_30 Depth=1
	s_mov_b32 s11, 0
.LBB25_33:                              ;   Parent Loop BB25_30 Depth=1
                                        ; =>  This Inner Loop Header: Depth=2
	global_load_b32 v9, v[6:7], off glc
	s_waitcnt vmcnt(0)
	v_and_b32_e32 v3, -2.0, v9
	s_delay_alu instid0(VALU_DEP_1) | instskip(NEXT) | instid1(VALU_DEP_1)
	v_cmp_ne_u32_e64 s6, 0, v3
	s_or_b32 s11, s6, s11
	s_delay_alu instid0(SALU_CYCLE_1)
	s_and_not1_b32 exec_lo, exec_lo, s11
	s_cbranch_execnz .LBB25_33
; %bb.34:                               ;   in Loop: Header=BB25_30 Depth=1
	s_or_b32 exec_lo, exec_lo, s11
	s_branch .LBB25_29
.LBB25_35:                              ;   in Loop: Header=BB25_30 Depth=1
                                        ; implicit-def: $sgpr9
	s_and_b32 s10, exec_lo, s6
	s_delay_alu instid0(SALU_CYCLE_1) | instskip(NEXT) | instid1(SALU_CYCLE_1)
	s_or_b32 s8, s10, s8
	s_and_not1_b32 exec_lo, exec_lo, s8
	s_cbranch_execnz .LBB25_30
.LBB25_36:
	s_or_b32 exec_lo, exec_lo, s8
	v_add_nc_u32_e32 v3, v8, v18
	v_lshlrev_b32_e32 v4, 3, v5
	s_delay_alu instid0(VALU_DEP_2) | instskip(SKIP_3) | instid1(VALU_DEP_1)
	v_or_b32_e32 v3, 0x80000000, v3
	global_store_b32 v[1:2], v3, off
	global_load_b64 v[1:2], v4, s[24:25]
	v_sub_co_u32 v3, s6, v8, v16
	v_sub_co_ci_u32_e64 v6, null, 0, 0, s6
	s_waitcnt vmcnt(0)
	s_delay_alu instid0(VALU_DEP_2) | instskip(NEXT) | instid1(VALU_DEP_1)
	v_add_co_u32 v1, s6, v3, v1
	v_add_co_ci_u32_e64 v2, s6, v6, v2, s6
	ds_store_b64 v4, v[1:2]
.LBB25_37:
	s_or_b32 exec_lo, exec_lo, s7
	v_cmp_gt_u32_e64 s6, s34, v5
	v_lshlrev_b32_e32 v24, 1, v5
	s_waitcnt lgkmcnt(0)
	s_waitcnt_vscnt null, 0x0
	s_barrier
	buffer_gl0_inv
	s_and_saveexec_b32 s8, s6
	s_cbranch_execz .LBB25_39
; %bb.38:
	ds_load_u16 v3, v24 offset:2048
	s_waitcnt lgkmcnt(0)
	v_and_b32_e32 v1, 0xffff, v3
	s_delay_alu instid0(VALU_DEP_1) | instskip(NEXT) | instid1(VALU_DEP_1)
	v_lshrrev_b32_e32 v1, s28, v1
	v_and_b32_e32 v1, s33, v1
	s_delay_alu instid0(VALU_DEP_1) | instskip(SKIP_3) | instid1(VALU_DEP_1)
	v_lshlrev_b32_e32 v1, 3, v1
	ds_load_b64 v[1:2], v1
	s_waitcnt lgkmcnt(0)
	v_lshlrev_b64 v[1:2], 1, v[1:2]
	v_add_co_u32 v1, s7, s18, v1
	s_delay_alu instid0(VALU_DEP_1) | instskip(NEXT) | instid1(VALU_DEP_2)
	v_add_co_ci_u32_e64 v2, s7, s19, v2, s7
	v_add_co_u32 v1, s7, v1, v24
	s_delay_alu instid0(VALU_DEP_1)
	v_add_co_ci_u32_e64 v2, s7, 0, v2, s7
	global_store_b16 v[1:2], v3, off
.LBB25_39:
	s_or_b32 exec_lo, exec_lo, s8
	v_or_b32_e32 v15, 0x400, v5
	s_delay_alu instid0(VALU_DEP_1) | instskip(NEXT) | instid1(VALU_DEP_1)
	v_cmp_gt_u32_e64 s7, s34, v15
	s_and_saveexec_b32 s9, s7
	s_cbranch_execz .LBB25_41
; %bb.40:
	ds_load_u16 v3, v24 offset:4096
	s_waitcnt lgkmcnt(0)
	v_and_b32_e32 v1, 0xffff, v3
	s_delay_alu instid0(VALU_DEP_1) | instskip(NEXT) | instid1(VALU_DEP_1)
	v_lshrrev_b32_e32 v1, s28, v1
	v_and_b32_e32 v1, s33, v1
	s_delay_alu instid0(VALU_DEP_1) | instskip(SKIP_3) | instid1(VALU_DEP_1)
	v_lshlrev_b32_e32 v1, 3, v1
	ds_load_b64 v[1:2], v1
	s_waitcnt lgkmcnt(0)
	v_lshlrev_b64 v[1:2], 1, v[1:2]
	v_add_co_u32 v1, s8, s18, v1
	s_delay_alu instid0(VALU_DEP_1) | instskip(NEXT) | instid1(VALU_DEP_2)
	v_add_co_ci_u32_e64 v2, s8, s19, v2, s8
	v_add_co_u32 v1, s8, v1, v24
	s_delay_alu instid0(VALU_DEP_1)
	v_add_co_ci_u32_e64 v2, s8, 0, v2, s8
	global_store_b16 v[1:2], v3, off offset:2048
.LBB25_41:
	s_or_b32 exec_lo, exec_lo, s9
	v_or_b32_e32 v21, 0x800, v5
	s_delay_alu instid0(VALU_DEP_1) | instskip(NEXT) | instid1(VALU_DEP_1)
	v_cmp_gt_u32_e64 s8, s34, v21
	s_and_saveexec_b32 s10, s8
	s_cbranch_execz .LBB25_43
; %bb.42:
	ds_load_u16 v3, v24 offset:6144
	v_lshlrev_b32_e32 v4, 1, v21
	s_waitcnt lgkmcnt(0)
	v_and_b32_e32 v1, 0xffff, v3
	s_delay_alu instid0(VALU_DEP_1) | instskip(NEXT) | instid1(VALU_DEP_1)
	v_lshrrev_b32_e32 v1, s28, v1
	v_and_b32_e32 v1, s33, v1
	s_delay_alu instid0(VALU_DEP_1) | instskip(SKIP_3) | instid1(VALU_DEP_1)
	v_lshlrev_b32_e32 v1, 3, v1
	ds_load_b64 v[1:2], v1
	s_waitcnt lgkmcnt(0)
	v_lshlrev_b64 v[1:2], 1, v[1:2]
	v_add_co_u32 v1, s9, s18, v1
	s_delay_alu instid0(VALU_DEP_1) | instskip(NEXT) | instid1(VALU_DEP_2)
	v_add_co_ci_u32_e64 v2, s9, s19, v2, s9
	v_add_co_u32 v1, s9, v1, v4
	s_delay_alu instid0(VALU_DEP_1)
	v_add_co_ci_u32_e64 v2, s9, 0, v2, s9
	global_store_b16 v[1:2], v3, off
.LBB25_43:
	s_or_b32 exec_lo, exec_lo, s10
	v_or_b32_e32 v23, 0xc00, v5
	s_delay_alu instid0(VALU_DEP_1) | instskip(NEXT) | instid1(VALU_DEP_1)
	v_cmp_gt_u32_e64 s9, s34, v23
	s_and_saveexec_b32 s11, s9
	s_cbranch_execz .LBB25_45
; %bb.44:
	ds_load_u16 v3, v24 offset:8192
	v_lshlrev_b32_e32 v4, 1, v23
	s_waitcnt lgkmcnt(0)
	v_and_b32_e32 v1, 0xffff, v3
	s_delay_alu instid0(VALU_DEP_1) | instskip(NEXT) | instid1(VALU_DEP_1)
	v_lshrrev_b32_e32 v1, s28, v1
	v_and_b32_e32 v1, s33, v1
	s_delay_alu instid0(VALU_DEP_1) | instskip(SKIP_3) | instid1(VALU_DEP_1)
	v_lshlrev_b32_e32 v1, 3, v1
	ds_load_b64 v[1:2], v1
	s_waitcnt lgkmcnt(0)
	v_lshlrev_b64 v[1:2], 1, v[1:2]
	v_add_co_u32 v1, s10, s18, v1
	s_delay_alu instid0(VALU_DEP_1) | instskip(NEXT) | instid1(VALU_DEP_2)
	v_add_co_ci_u32_e64 v2, s10, s19, v2, s10
	v_add_co_u32 v1, s10, v1, v4
	s_delay_alu instid0(VALU_DEP_1)
	v_add_co_ci_u32_e64 v2, s10, 0, v2, s10
	global_store_b16 v[1:2], v3, off
.LBB25_45:
	s_or_b32 exec_lo, exec_lo, s11
	v_lshlrev_b32_e32 v1, 3, v14
	s_lshl_b64 s[10:11], s[30:31], 3
	v_lshlrev_b32_e32 v2, 3, v10
	s_add_u32 s10, s20, s10
	s_addc_u32 s11, s21, s11
	v_add_co_u32 v1, s10, s10, v1
	s_delay_alu instid0(VALU_DEP_1) | instskip(NEXT) | instid1(VALU_DEP_2)
	v_add_co_ci_u32_e64 v3, null, s11, 0, s10
                                        ; implicit-def: $vgpr6_vgpr7
	v_add_co_u32 v1, s10, v1, v2
	s_delay_alu instid0(VALU_DEP_1) | instskip(SKIP_1) | instid1(SALU_CYCLE_1)
	v_add_co_ci_u32_e64 v2, s10, 0, v3, s10
	s_and_saveexec_b32 s10, vcc_lo
	s_xor_b32 s10, exec_lo, s10
	s_cbranch_execnz .LBB25_99
; %bb.46:
	s_or_b32 exec_lo, exec_lo, s10
                                        ; implicit-def: $vgpr8_vgpr9
	s_and_saveexec_b32 s10, s2
	s_cbranch_execnz .LBB25_100
.LBB25_47:
	s_or_b32 exec_lo, exec_lo, s10
                                        ; implicit-def: $vgpr10_vgpr11
	s_and_saveexec_b32 s2, s3
	s_cbranch_execnz .LBB25_101
.LBB25_48:
	s_or_b32 exec_lo, exec_lo, s2
                                        ; implicit-def: $vgpr12_vgpr13
	s_and_saveexec_b32 s2, s4
	s_cbranch_execnz .LBB25_102
.LBB25_49:
	s_or_b32 exec_lo, exec_lo, s2
                                        ; implicit-def: $vgpr1_vgpr2_vgpr3_vgpr4
	s_and_saveexec_b32 s2, s6
	s_cbranch_execnz .LBB25_103
.LBB25_50:
	s_or_b32 exec_lo, exec_lo, s2
	s_and_saveexec_b32 s2, s7
	s_cbranch_execnz .LBB25_104
.LBB25_51:
	s_or_b32 exec_lo, exec_lo, s2
	s_and_saveexec_b32 s2, s8
	s_cbranch_execnz .LBB25_105
.LBB25_52:
	s_or_b32 exec_lo, exec_lo, s2
	s_and_saveexec_b32 s2, s9
	s_cbranch_execz .LBB25_54
.LBB25_53:
	ds_load_u16 v4, v24 offset:8192
	s_waitcnt lgkmcnt(0)
	v_lshrrev_b32_e32 v4, s28, v4
	s_delay_alu instid0(VALU_DEP_1)
	v_and_b32_e32 v4, s33, v4
.LBB25_54:
	s_or_b32 exec_lo, exec_lo, s2
	v_lshlrev_b32_e32 v22, 3, v22
	v_lshlrev_b32_e32 v20, 3, v20
	;; [unrolled: 1-line block ×3, first 2 shown]
	s_waitcnt vmcnt(0)
	s_waitcnt_vscnt null, 0x0
	s_barrier
	buffer_gl0_inv
	v_lshlrev_b32_e32 v17, 3, v17
	ds_store_b64 v22, v[6:7] offset:2048
	ds_store_b64 v20, v[8:9] offset:2048
	;; [unrolled: 1-line block ×3, first 2 shown]
	v_lshlrev_b32_e32 v6, 3, v5
	ds_store_b64 v17, v[12:13] offset:2048
	s_waitcnt lgkmcnt(0)
	s_barrier
	buffer_gl0_inv
	s_and_saveexec_b32 s2, s6
	s_cbranch_execnz .LBB25_106
; %bb.55:
	s_or_b32 exec_lo, exec_lo, s2
	s_and_saveexec_b32 s2, s7
	s_cbranch_execnz .LBB25_107
.LBB25_56:
	s_or_b32 exec_lo, exec_lo, s2
	s_and_saveexec_b32 s2, s8
	s_cbranch_execnz .LBB25_108
.LBB25_57:
	s_or_b32 exec_lo, exec_lo, s2
	s_and_saveexec_b32 s2, s9
	s_cbranch_execz .LBB25_59
.LBB25_58:
	v_lshlrev_b32_e32 v1, 3, v4
	ds_load_b64 v[1:2], v1
	ds_load_b64 v[3:4], v6 offset:26624
	v_lshlrev_b32_e32 v6, 3, v23
	s_waitcnt lgkmcnt(1)
	v_lshlrev_b64 v[1:2], 3, v[1:2]
	s_delay_alu instid0(VALU_DEP_1) | instskip(NEXT) | instid1(VALU_DEP_2)
	v_add_co_u32 v1, vcc_lo, s22, v1
	v_add_co_ci_u32_e32 v2, vcc_lo, s23, v2, vcc_lo
	s_delay_alu instid0(VALU_DEP_2) | instskip(NEXT) | instid1(VALU_DEP_2)
	v_add_co_u32 v1, vcc_lo, v1, v6
	v_add_co_ci_u32_e32 v2, vcc_lo, 0, v2, vcc_lo
	s_waitcnt lgkmcnt(0)
	global_store_b64 v[1:2], v[3:4], off
.LBB25_59:
	s_or_b32 exec_lo, exec_lo, s2
	s_add_i32 s14, s14, -1
	s_mov_b32 s2, 0
	s_cmp_eq_u32 s15, s14
	s_mov_b32 s8, 0
	s_cselect_b32 s3, -1, 0
                                        ; implicit-def: $vgpr2_vgpr3
	s_delay_alu instid0(SALU_CYCLE_1) | instskip(NEXT) | instid1(SALU_CYCLE_1)
	s_and_b32 s3, s5, s3
	s_and_saveexec_b32 s4, s3
	s_delay_alu instid0(SALU_CYCLE_1)
	s_xor_b32 s3, exec_lo, s4
; %bb.60:
	v_add_co_u32 v2, s4, v16, v18
	v_mov_b32_e32 v6, 0
	v_add_co_ci_u32_e64 v3, null, 0, 0, s4
	s_mov_b32 s8, exec_lo
; %bb.61:
	s_or_b32 exec_lo, exec_lo, s3
	s_delay_alu instid0(SALU_CYCLE_1)
	s_and_b32 vcc_lo, exec_lo, s2
	s_cbranch_vccnz .LBB25_63
	s_branch .LBB25_96
.LBB25_62:
	s_mov_b32 s8, 0
                                        ; implicit-def: $vgpr2_vgpr3
	s_cbranch_execz .LBB25_96
.LBB25_63:
	v_lshlrev_b32_e32 v15, 2, v5
	s_lshl_b32 s6, s15, 12
	s_mov_b32 s7, 0
	v_lshlrev_b32_e32 v1, 1, v14
	s_lshl_b64 s[2:3], s[6:7], 1
	v_and_b32_e32 v4, 0xf80, v15
	s_add_u32 s2, s16, s2
	s_addc_u32 s3, s17, s3
	v_add_co_u32 v1, s2, s2, v1
	s_delay_alu instid0(VALU_DEP_2) | instskip(SKIP_1) | instid1(VALU_DEP_2)
	v_lshlrev_b32_e32 v2, 1, v4
	v_add_co_ci_u32_e64 v3, null, s3, 0, s2
	v_add_co_u32 v1, vcc_lo, v1, v2
	s_delay_alu instid0(VALU_DEP_2)
	v_add_co_ci_u32_e32 v2, vcc_lo, 0, v3, vcc_lo
	v_mov_b32_e32 v3, 0
	global_load_u16 v10, v[1:2], off
	s_clause 0x1
	s_load_b32 s2, s[0:1], 0x5c
	s_load_b32 s9, s[0:1], 0x50
	s_add_u32 s0, s0, 0x50
	s_addc_u32 s1, s1, 0
	s_waitcnt lgkmcnt(0)
	s_lshr_b32 s2, s2, 16
	s_cmp_lt_u32 s15, s9
	s_cselect_b32 s3, 12, 18
	s_delay_alu instid0(SALU_CYCLE_1)
	s_add_u32 s0, s0, s3
	s_addc_u32 s1, s1, 0
	global_load_u16 v6, v3, s[0:1]
	s_clause 0x2
	global_load_u16 v11, v[1:2], off offset:64
	global_load_u16 v12, v[1:2], off offset:128
	;; [unrolled: 1-line block ×3, first 2 shown]
	s_lshl_b32 s0, -1, s29
	s_delay_alu instid0(SALU_CYCLE_1) | instskip(SKIP_2) | instid1(VALU_DEP_1)
	s_not_b32 s10, s0
	s_waitcnt vmcnt(4)
	v_and_b32_e32 v1, 0xffff, v10
	v_lshrrev_b32_e32 v1, s28, v1
	s_delay_alu instid0(VALU_DEP_1) | instskip(SKIP_2) | instid1(VALU_DEP_3)
	v_and_b32_e32 v2, s10, v1
	v_bfe_u32 v1, v0, 10, 10
	v_bfe_u32 v0, v0, 20, 10
	v_and_b32_e32 v7, 1, v2
	v_lshlrev_b32_e32 v8, 30, v2
	v_lshlrev_b32_e32 v9, 29, v2
	;; [unrolled: 1-line block ×4, first 2 shown]
	v_add_co_u32 v7, s0, v7, -1
	s_delay_alu instid0(VALU_DEP_1)
	v_cndmask_b32_e64 v17, 0, 1, s0
	v_not_b32_e32 v21, v8
	v_cmp_gt_i32_e64 s0, 0, v8
	v_not_b32_e32 v8, v9
	v_lshlrev_b32_e32 v19, 26, v2
	v_cmp_ne_u32_e32 vcc_lo, 0, v17
	v_ashrrev_i32_e32 v21, 31, v21
	v_lshlrev_b32_e32 v20, 25, v2
	v_ashrrev_i32_e32 v8, 31, v8
	v_lshlrev_b32_e32 v17, 24, v2
	v_xor_b32_e32 v7, vcc_lo, v7
	v_cmp_gt_i32_e32 vcc_lo, 0, v9
	v_not_b32_e32 v9, v16
	v_xor_b32_e32 v21, s0, v21
	v_cmp_gt_i32_e64 s0, 0, v16
	v_and_b32_e32 v7, exec_lo, v7
	v_not_b32_e32 v16, v18
	v_ashrrev_i32_e32 v9, 31, v9
	v_xor_b32_e32 v8, vcc_lo, v8
	v_cmp_gt_i32_e32 vcc_lo, 0, v18
	v_and_b32_e32 v7, v7, v21
	v_not_b32_e32 v18, v19
	v_ashrrev_i32_e32 v16, 31, v16
	v_xor_b32_e32 v9, s0, v9
	v_cmp_gt_i32_e64 s0, 0, v19
	v_and_b32_e32 v7, v7, v8
	v_not_b32_e32 v8, v20
	v_ashrrev_i32_e32 v18, 31, v18
	v_xor_b32_e32 v16, vcc_lo, v16
	v_cmp_gt_i32_e32 vcc_lo, 0, v20
	v_and_b32_e32 v7, v7, v9
	v_not_b32_e32 v9, v17
	v_ashrrev_i32_e32 v8, 31, v8
	v_xor_b32_e32 v18, s0, v18
	v_cmp_gt_i32_e64 s0, 0, v17
	v_and_b32_e32 v7, v7, v16
	v_ashrrev_i32_e32 v9, 31, v9
	v_xor_b32_e32 v8, vcc_lo, v8
	v_mul_u32_u24_e32 v16, 9, v5
	v_mul_u32_u24_e32 v2, 33, v2
	v_and_b32_e32 v7, v7, v18
	v_mad_u32_u24 v18, v0, s2, v1
	v_xor_b32_e32 v9, s0, v9
	v_lshlrev_b32_e32 v17, 2, v16
	ds_store_2addr_b32 v17, v3, v3 offset0:32 offset1:33
	ds_store_2addr_b32 v17, v3, v3 offset0:34 offset1:35
	;; [unrolled: 1-line block ×4, first 2 shown]
	v_and_b32_e32 v7, v7, v8
	s_waitcnt vmcnt(3)
	v_mad_u64_u32 v[0:1], null, v18, v6, v[5:6]
	ds_store_b32 v17, v3 offset:160
	s_waitcnt vmcnt(0) lgkmcnt(0)
	s_waitcnt_vscnt null, 0x0
	v_and_b32_e32 v1, v7, v9
	s_barrier
	buffer_gl0_inv
	v_lshrrev_b32_e32 v0, 5, v0
	v_mbcnt_lo_u32_b32 v16, v1, 0
	v_cmp_ne_u32_e64 s0, 0, v1
	; wave barrier
	s_delay_alu instid0(VALU_DEP_3) | instskip(NEXT) | instid1(VALU_DEP_3)
	v_add_lshl_u32 v18, v0, v2, 2
	v_cmp_eq_u32_e32 vcc_lo, 0, v16
	s_delay_alu instid0(VALU_DEP_3) | instskip(NEXT) | instid1(SALU_CYCLE_1)
	s_and_b32 s1, s0, vcc_lo
	s_and_saveexec_b32 s0, s1
	s_cbranch_execz .LBB25_65
; %bb.64:
	v_bcnt_u32_b32 v1, v1, 0
	ds_store_b32 v18, v1 offset:128
.LBB25_65:
	s_or_b32 exec_lo, exec_lo, s0
	v_and_b32_e32 v1, 0xffff, v11
	; wave barrier
	s_delay_alu instid0(VALU_DEP_1) | instskip(NEXT) | instid1(VALU_DEP_1)
	v_lshrrev_b32_e32 v1, s28, v1
	v_and_b32_e32 v1, s10, v1
	s_delay_alu instid0(VALU_DEP_1)
	v_and_b32_e32 v2, 1, v1
	v_lshlrev_b32_e32 v3, 30, v1
	v_lshlrev_b32_e32 v6, 29, v1
	;; [unrolled: 1-line block ×4, first 2 shown]
	v_add_co_u32 v2, s0, v2, -1
	s_delay_alu instid0(VALU_DEP_1)
	v_cndmask_b32_e64 v8, 0, 1, s0
	v_not_b32_e32 v21, v3
	v_cmp_gt_i32_e64 s0, 0, v3
	v_not_b32_e32 v3, v6
	v_lshlrev_b32_e32 v19, 26, v1
	v_cmp_ne_u32_e32 vcc_lo, 0, v8
	v_ashrrev_i32_e32 v21, 31, v21
	v_lshlrev_b32_e32 v20, 25, v1
	v_ashrrev_i32_e32 v3, 31, v3
	v_lshlrev_b32_e32 v8, 24, v1
	v_xor_b32_e32 v2, vcc_lo, v2
	v_cmp_gt_i32_e32 vcc_lo, 0, v6
	v_not_b32_e32 v6, v7
	v_xor_b32_e32 v21, s0, v21
	v_cmp_gt_i32_e64 s0, 0, v7
	v_and_b32_e32 v2, exec_lo, v2
	v_not_b32_e32 v7, v9
	v_ashrrev_i32_e32 v6, 31, v6
	v_xor_b32_e32 v3, vcc_lo, v3
	v_cmp_gt_i32_e32 vcc_lo, 0, v9
	v_and_b32_e32 v2, v2, v21
	v_not_b32_e32 v9, v19
	v_ashrrev_i32_e32 v7, 31, v7
	v_xor_b32_e32 v6, s0, v6
	v_cmp_gt_i32_e64 s0, 0, v19
	v_and_b32_e32 v2, v2, v3
	v_not_b32_e32 v3, v20
	v_ashrrev_i32_e32 v9, 31, v9
	v_xor_b32_e32 v7, vcc_lo, v7
	v_cmp_gt_i32_e32 vcc_lo, 0, v20
	v_and_b32_e32 v2, v2, v6
	v_not_b32_e32 v6, v8
	v_ashrrev_i32_e32 v3, 31, v3
	v_xor_b32_e32 v9, s0, v9
	v_mul_u32_u24_e32 v1, 33, v1
	v_and_b32_e32 v2, v2, v7
	v_cmp_gt_i32_e64 s0, 0, v8
	v_ashrrev_i32_e32 v6, 31, v6
	v_xor_b32_e32 v3, vcc_lo, v3
	v_add_lshl_u32 v21, v0, v1, 2
	v_and_b32_e32 v2, v2, v9
	s_delay_alu instid0(VALU_DEP_4) | instskip(SKIP_2) | instid1(VALU_DEP_1)
	v_xor_b32_e32 v1, s0, v6
	ds_load_b32 v19, v21 offset:128
	v_and_b32_e32 v2, v2, v3
	; wave barrier
	v_and_b32_e32 v1, v2, v1
	s_delay_alu instid0(VALU_DEP_1) | instskip(SKIP_1) | instid1(VALU_DEP_2)
	v_mbcnt_lo_u32_b32 v20, v1, 0
	v_cmp_ne_u32_e64 s0, 0, v1
	v_cmp_eq_u32_e32 vcc_lo, 0, v20
	s_delay_alu instid0(VALU_DEP_2) | instskip(NEXT) | instid1(SALU_CYCLE_1)
	s_and_b32 s1, s0, vcc_lo
	s_and_saveexec_b32 s0, s1
	s_cbranch_execz .LBB25_67
; %bb.66:
	s_waitcnt lgkmcnt(0)
	v_bcnt_u32_b32 v1, v1, v19
	ds_store_b32 v21, v1 offset:128
.LBB25_67:
	s_or_b32 exec_lo, exec_lo, s0
	v_and_b32_e32 v1, 0xffff, v12
	; wave barrier
	s_delay_alu instid0(VALU_DEP_1) | instskip(NEXT) | instid1(VALU_DEP_1)
	v_lshrrev_b32_e32 v1, s28, v1
	v_and_b32_e32 v1, s10, v1
	s_delay_alu instid0(VALU_DEP_1)
	v_and_b32_e32 v2, 1, v1
	v_lshlrev_b32_e32 v3, 30, v1
	v_lshlrev_b32_e32 v6, 29, v1
	;; [unrolled: 1-line block ×4, first 2 shown]
	v_add_co_u32 v2, s0, v2, -1
	s_delay_alu instid0(VALU_DEP_1)
	v_cndmask_b32_e64 v8, 0, 1, s0
	v_not_b32_e32 v24, v3
	v_cmp_gt_i32_e64 s0, 0, v3
	v_not_b32_e32 v3, v6
	v_lshlrev_b32_e32 v22, 26, v1
	v_cmp_ne_u32_e32 vcc_lo, 0, v8
	v_ashrrev_i32_e32 v24, 31, v24
	v_lshlrev_b32_e32 v23, 25, v1
	v_ashrrev_i32_e32 v3, 31, v3
	v_lshlrev_b32_e32 v8, 24, v1
	v_xor_b32_e32 v2, vcc_lo, v2
	v_cmp_gt_i32_e32 vcc_lo, 0, v6
	v_not_b32_e32 v6, v7
	v_xor_b32_e32 v24, s0, v24
	v_cmp_gt_i32_e64 s0, 0, v7
	v_and_b32_e32 v2, exec_lo, v2
	v_not_b32_e32 v7, v9
	v_ashrrev_i32_e32 v6, 31, v6
	v_xor_b32_e32 v3, vcc_lo, v3
	v_cmp_gt_i32_e32 vcc_lo, 0, v9
	v_and_b32_e32 v2, v2, v24
	v_not_b32_e32 v9, v22
	v_ashrrev_i32_e32 v7, 31, v7
	v_xor_b32_e32 v6, s0, v6
	v_cmp_gt_i32_e64 s0, 0, v22
	v_and_b32_e32 v2, v2, v3
	v_not_b32_e32 v3, v23
	v_ashrrev_i32_e32 v9, 31, v9
	v_xor_b32_e32 v7, vcc_lo, v7
	v_cmp_gt_i32_e32 vcc_lo, 0, v23
	v_and_b32_e32 v2, v2, v6
	v_not_b32_e32 v6, v8
	v_ashrrev_i32_e32 v3, 31, v3
	v_xor_b32_e32 v9, s0, v9
	v_mul_u32_u24_e32 v1, 33, v1
	v_and_b32_e32 v2, v2, v7
	v_cmp_gt_i32_e64 s0, 0, v8
	v_ashrrev_i32_e32 v6, 31, v6
	v_xor_b32_e32 v3, vcc_lo, v3
	v_add_lshl_u32 v24, v0, v1, 2
	v_and_b32_e32 v2, v2, v9
	s_delay_alu instid0(VALU_DEP_4) | instskip(SKIP_2) | instid1(VALU_DEP_1)
	v_xor_b32_e32 v1, s0, v6
	ds_load_b32 v22, v24 offset:128
	v_and_b32_e32 v2, v2, v3
	; wave barrier
	v_and_b32_e32 v1, v2, v1
	s_delay_alu instid0(VALU_DEP_1) | instskip(SKIP_1) | instid1(VALU_DEP_2)
	v_mbcnt_lo_u32_b32 v23, v1, 0
	v_cmp_ne_u32_e64 s0, 0, v1
	v_cmp_eq_u32_e32 vcc_lo, 0, v23
	s_delay_alu instid0(VALU_DEP_2) | instskip(NEXT) | instid1(SALU_CYCLE_1)
	s_and_b32 s1, s0, vcc_lo
	s_and_saveexec_b32 s0, s1
	s_cbranch_execz .LBB25_69
; %bb.68:
	s_waitcnt lgkmcnt(0)
	v_bcnt_u32_b32 v1, v1, v22
	ds_store_b32 v24, v1 offset:128
.LBB25_69:
	s_or_b32 exec_lo, exec_lo, s0
	v_and_b32_e32 v1, 0xffff, v13
	; wave barrier
	v_add_nc_u32_e32 v28, 0x80, v17
	s_delay_alu instid0(VALU_DEP_2) | instskip(NEXT) | instid1(VALU_DEP_1)
	v_lshrrev_b32_e32 v1, s28, v1
	v_and_b32_e32 v1, s10, v1
	s_delay_alu instid0(VALU_DEP_1)
	v_and_b32_e32 v2, 1, v1
	v_lshlrev_b32_e32 v3, 30, v1
	v_lshlrev_b32_e32 v6, 29, v1
	;; [unrolled: 1-line block ×4, first 2 shown]
	v_add_co_u32 v2, s0, v2, -1
	s_delay_alu instid0(VALU_DEP_1)
	v_cndmask_b32_e64 v8, 0, 1, s0
	v_not_b32_e32 v27, v3
	v_cmp_gt_i32_e64 s0, 0, v3
	v_not_b32_e32 v3, v6
	v_lshlrev_b32_e32 v25, 26, v1
	v_cmp_ne_u32_e32 vcc_lo, 0, v8
	v_ashrrev_i32_e32 v27, 31, v27
	v_lshlrev_b32_e32 v26, 25, v1
	v_ashrrev_i32_e32 v3, 31, v3
	v_lshlrev_b32_e32 v8, 24, v1
	v_xor_b32_e32 v2, vcc_lo, v2
	v_cmp_gt_i32_e32 vcc_lo, 0, v6
	v_not_b32_e32 v6, v7
	v_xor_b32_e32 v27, s0, v27
	v_cmp_gt_i32_e64 s0, 0, v7
	v_and_b32_e32 v2, exec_lo, v2
	v_not_b32_e32 v7, v9
	v_ashrrev_i32_e32 v6, 31, v6
	v_xor_b32_e32 v3, vcc_lo, v3
	v_cmp_gt_i32_e32 vcc_lo, 0, v9
	v_and_b32_e32 v2, v2, v27
	v_not_b32_e32 v9, v25
	v_ashrrev_i32_e32 v7, 31, v7
	v_xor_b32_e32 v6, s0, v6
	v_cmp_gt_i32_e64 s0, 0, v25
	v_and_b32_e32 v2, v2, v3
	v_not_b32_e32 v3, v26
	v_ashrrev_i32_e32 v9, 31, v9
	v_xor_b32_e32 v7, vcc_lo, v7
	v_cmp_gt_i32_e32 vcc_lo, 0, v26
	v_and_b32_e32 v2, v2, v6
	v_not_b32_e32 v6, v8
	v_ashrrev_i32_e32 v3, 31, v3
	v_xor_b32_e32 v9, s0, v9
	v_mul_u32_u24_e32 v1, 33, v1
	v_and_b32_e32 v2, v2, v7
	v_cmp_gt_i32_e64 s0, 0, v8
	v_ashrrev_i32_e32 v6, 31, v6
	v_xor_b32_e32 v3, vcc_lo, v3
	v_add_lshl_u32 v27, v0, v1, 2
	v_and_b32_e32 v2, v2, v9
	s_delay_alu instid0(VALU_DEP_4) | instskip(SKIP_2) | instid1(VALU_DEP_1)
	v_xor_b32_e32 v0, s0, v6
	ds_load_b32 v25, v27 offset:128
	v_and_b32_e32 v1, v2, v3
	; wave barrier
	v_and_b32_e32 v0, v1, v0
	s_delay_alu instid0(VALU_DEP_1) | instskip(SKIP_1) | instid1(VALU_DEP_2)
	v_mbcnt_lo_u32_b32 v26, v0, 0
	v_cmp_ne_u32_e64 s0, 0, v0
	v_cmp_eq_u32_e32 vcc_lo, 0, v26
	s_delay_alu instid0(VALU_DEP_2) | instskip(NEXT) | instid1(SALU_CYCLE_1)
	s_and_b32 s1, s0, vcc_lo
	s_and_saveexec_b32 s0, s1
	s_cbranch_execz .LBB25_71
; %bb.70:
	s_waitcnt lgkmcnt(0)
	v_bcnt_u32_b32 v0, v0, v25
	ds_store_b32 v27, v0 offset:128
.LBB25_71:
	s_or_b32 exec_lo, exec_lo, s0
	; wave barrier
	s_waitcnt lgkmcnt(0)
	s_barrier
	buffer_gl0_inv
	ds_load_2addr_b32 v[8:9], v17 offset0:32 offset1:33
	ds_load_2addr_b32 v[6:7], v28 offset0:2 offset1:3
	;; [unrolled: 1-line block ×4, first 2 shown]
	ds_load_b32 v29, v28 offset:32
	v_and_b32_e32 v32, 16, v14
	v_and_b32_e32 v33, 31, v5
	s_mov_b32 s5, exec_lo
	s_delay_alu instid0(VALU_DEP_2) | instskip(SKIP_3) | instid1(VALU_DEP_1)
	v_cmp_eq_u32_e64 s3, 0, v32
	s_waitcnt lgkmcnt(3)
	v_add3_u32 v30, v9, v8, v6
	s_waitcnt lgkmcnt(2)
	v_add3_u32 v30, v30, v7, v2
	s_waitcnt lgkmcnt(1)
	s_delay_alu instid0(VALU_DEP_1) | instskip(SKIP_1) | instid1(VALU_DEP_1)
	v_add3_u32 v30, v30, v3, v0
	s_waitcnt lgkmcnt(0)
	v_add3_u32 v29, v30, v1, v29
	v_and_b32_e32 v30, 15, v14
	s_delay_alu instid0(VALU_DEP_2) | instskip(NEXT) | instid1(VALU_DEP_2)
	v_mov_b32_dpp v31, v29 row_shr:1 row_mask:0xf bank_mask:0xf
	v_cmp_eq_u32_e32 vcc_lo, 0, v30
	v_cmp_lt_u32_e64 s0, 1, v30
	v_cmp_lt_u32_e64 s1, 3, v30
	;; [unrolled: 1-line block ×3, first 2 shown]
	v_cndmask_b32_e64 v31, v31, 0, vcc_lo
	s_delay_alu instid0(VALU_DEP_1) | instskip(NEXT) | instid1(VALU_DEP_1)
	v_add_nc_u32_e32 v29, v31, v29
	v_mov_b32_dpp v31, v29 row_shr:2 row_mask:0xf bank_mask:0xf
	s_delay_alu instid0(VALU_DEP_1) | instskip(NEXT) | instid1(VALU_DEP_1)
	v_cndmask_b32_e64 v31, 0, v31, s0
	v_add_nc_u32_e32 v29, v29, v31
	s_delay_alu instid0(VALU_DEP_1) | instskip(NEXT) | instid1(VALU_DEP_1)
	v_mov_b32_dpp v31, v29 row_shr:4 row_mask:0xf bank_mask:0xf
	v_cndmask_b32_e64 v31, 0, v31, s1
	s_delay_alu instid0(VALU_DEP_1) | instskip(NEXT) | instid1(VALU_DEP_1)
	v_add_nc_u32_e32 v29, v29, v31
	v_mov_b32_dpp v31, v29 row_shr:8 row_mask:0xf bank_mask:0xf
	s_delay_alu instid0(VALU_DEP_1) | instskip(SKIP_1) | instid1(VALU_DEP_2)
	v_cndmask_b32_e64 v30, 0, v31, s2
	v_bfe_i32 v31, v14, 4, 1
	v_add_nc_u32_e32 v29, v29, v30
	ds_swizzle_b32 v30, v29 offset:swizzle(BROADCAST,32,15)
	s_waitcnt lgkmcnt(0)
	v_and_b32_e32 v31, v31, v30
	v_lshrrev_b32_e32 v30, 5, v5
	s_delay_alu instid0(VALU_DEP_2)
	v_add_nc_u32_e32 v29, v29, v31
	v_cmpx_eq_u32_e32 31, v33
	s_cbranch_execz .LBB25_73
; %bb.72:
	s_delay_alu instid0(VALU_DEP_3)
	v_lshlrev_b32_e32 v31, 2, v30
	ds_store_b32 v31, v29
.LBB25_73:
	s_or_b32 exec_lo, exec_lo, s5
	v_cmp_lt_u32_e64 s4, 31, v5
	s_mov_b32 s11, exec_lo
	s_waitcnt lgkmcnt(0)
	s_barrier
	buffer_gl0_inv
	v_cmpx_gt_u32_e32 32, v5
	s_cbranch_execz .LBB25_75
; %bb.74:
	ds_load_b32 v31, v15
	s_waitcnt lgkmcnt(0)
	v_mov_b32_dpp v32, v31 row_shr:1 row_mask:0xf bank_mask:0xf
	s_delay_alu instid0(VALU_DEP_1) | instskip(NEXT) | instid1(VALU_DEP_1)
	v_cndmask_b32_e64 v32, v32, 0, vcc_lo
	v_add_nc_u32_e32 v31, v32, v31
	s_delay_alu instid0(VALU_DEP_1) | instskip(NEXT) | instid1(VALU_DEP_1)
	v_mov_b32_dpp v32, v31 row_shr:2 row_mask:0xf bank_mask:0xf
	v_cndmask_b32_e64 v32, 0, v32, s0
	s_delay_alu instid0(VALU_DEP_1) | instskip(NEXT) | instid1(VALU_DEP_1)
	v_add_nc_u32_e32 v31, v31, v32
	v_mov_b32_dpp v32, v31 row_shr:4 row_mask:0xf bank_mask:0xf
	s_delay_alu instid0(VALU_DEP_1) | instskip(NEXT) | instid1(VALU_DEP_1)
	v_cndmask_b32_e64 v32, 0, v32, s1
	v_add_nc_u32_e32 v31, v31, v32
	s_delay_alu instid0(VALU_DEP_1) | instskip(NEXT) | instid1(VALU_DEP_1)
	v_mov_b32_dpp v32, v31 row_shr:8 row_mask:0xf bank_mask:0xf
	v_cndmask_b32_e64 v32, 0, v32, s2
	s_delay_alu instid0(VALU_DEP_1) | instskip(SKIP_3) | instid1(VALU_DEP_1)
	v_add_nc_u32_e32 v31, v31, v32
	ds_swizzle_b32 v32, v31 offset:swizzle(BROADCAST,32,15)
	s_waitcnt lgkmcnt(0)
	v_cndmask_b32_e64 v32, v32, 0, s3
	v_add_nc_u32_e32 v31, v31, v32
	ds_store_b32 v15, v31
.LBB25_75:
	s_or_b32 exec_lo, exec_lo, s11
	v_mov_b32_e32 v15, 0
	s_waitcnt lgkmcnt(0)
	s_barrier
	buffer_gl0_inv
	s_and_saveexec_b32 s0, s4
	s_cbranch_execz .LBB25_77
; %bb.76:
	v_lshl_add_u32 v15, v30, 2, -4
	ds_load_b32 v15, v15
.LBB25_77:
	s_or_b32 exec_lo, exec_lo, s0
	v_add_nc_u32_e32 v30, -1, v14
	v_cmp_lt_u32_e64 s0, 0xff, v5
	s_waitcnt lgkmcnt(0)
	v_add_nc_u32_e32 v29, v15, v29
	s_delay_alu instid0(VALU_DEP_3) | instskip(SKIP_2) | instid1(VALU_DEP_2)
	v_cmp_gt_i32_e32 vcc_lo, 0, v30
	v_cndmask_b32_e32 v30, v30, v14, vcc_lo
	v_cmp_eq_u32_e32 vcc_lo, 0, v14
	v_lshlrev_b32_e32 v30, 2, v30
	ds_bpermute_b32 v29, v30, v29
	s_waitcnt lgkmcnt(0)
	v_cndmask_b32_e32 v15, v29, v15, vcc_lo
	v_cmp_ne_u32_e32 vcc_lo, 0, v5
	s_delay_alu instid0(VALU_DEP_2) | instskip(SKIP_1) | instid1(VALU_DEP_2)
	v_cndmask_b32_e32 v15, 0, v15, vcc_lo
	v_cmp_gt_u32_e32 vcc_lo, 0x100, v5
	v_add_nc_u32_e32 v8, v15, v8
	s_delay_alu instid0(VALU_DEP_1) | instskip(NEXT) | instid1(VALU_DEP_1)
	v_add_nc_u32_e32 v9, v8, v9
	v_add_nc_u32_e32 v6, v9, v6
	s_delay_alu instid0(VALU_DEP_1) | instskip(NEXT) | instid1(VALU_DEP_1)
	v_add_nc_u32_e32 v7, v6, v7
	v_add_nc_u32_e32 v2, v7, v2
	s_delay_alu instid0(VALU_DEP_1) | instskip(NEXT) | instid1(VALU_DEP_1)
	v_add_nc_u32_e32 v3, v2, v3
	v_add_nc_u32_e32 v0, v3, v0
	s_delay_alu instid0(VALU_DEP_1)
	v_add_nc_u32_e32 v1, v0, v1
	ds_store_2addr_b32 v17, v15, v8 offset0:32 offset1:33
	ds_store_2addr_b32 v28, v9, v6 offset0:2 offset1:3
	;; [unrolled: 1-line block ×4, first 2 shown]
	ds_store_b32 v28, v1 offset:32
	v_mov_b32_e32 v0, 0
	s_waitcnt lgkmcnt(0)
	s_barrier
	buffer_gl0_inv
	ds_load_b32 v2, v18 offset:128
	ds_load_b32 v3, v21 offset:128
	;; [unrolled: 1-line block ×4, first 2 shown]
	v_mov_b32_e32 v1, 0
                                        ; implicit-def: $vgpr15
	s_and_saveexec_b32 s2, vcc_lo
	s_cbranch_execz .LBB25_81
; %bb.78:
	v_mul_u32_u24_e32 v0, 33, v5
	s_mov_b32 s3, exec_lo
	s_delay_alu instid0(VALU_DEP_1)
	v_dual_mov_b32 v1, 0x1000 :: v_dual_lshlrev_b32 v8, 2, v0
	ds_load_b32 v0, v8 offset:128
	v_cmpx_ne_u32_e32 0xff, v5
	s_cbranch_execz .LBB25_80
; %bb.79:
	ds_load_b32 v1, v8 offset:260
.LBB25_80:
	s_or_b32 exec_lo, exec_lo, s3
	s_waitcnt lgkmcnt(0)
	v_sub_nc_u32_e32 v15, v1, v0
	v_mov_b32_e32 v1, 0
.LBB25_81:
	s_or_b32 exec_lo, exec_lo, s2
	s_waitcnt lgkmcnt(3)
	v_add_nc_u32_e32 v21, v2, v16
	s_waitcnt lgkmcnt(1)
	v_add3_u32 v17, v23, v22, v6
	v_add3_u32 v18, v20, v19, v3
	s_waitcnt lgkmcnt(0)
	v_add3_u32 v16, v26, v25, v7
	v_lshlrev_b32_e32 v2, 1, v21
	v_lshlrev_b32_e32 v6, 1, v17
	;; [unrolled: 1-line block ×3, first 2 shown]
	s_delay_alu instid0(VALU_DEP_4)
	v_lshlrev_b32_e32 v7, 1, v16
	s_barrier
	buffer_gl0_inv
	ds_store_b16 v2, v10 offset:2048
	ds_store_b16 v3, v11 offset:2048
	ds_store_b16 v6, v12 offset:2048
	ds_store_b16 v7, v13 offset:2048
	s_waitcnt lgkmcnt(0)
	s_barrier
	buffer_gl0_inv
	s_and_saveexec_b32 s1, s0
	s_delay_alu instid0(SALU_CYCLE_1)
	s_xor_b32 s0, exec_lo, s1
; %bb.82:
	v_mov_b32_e32 v6, 0
; %bb.83:
	s_and_not1_saveexec_b32 s1, s0
	s_cbranch_execz .LBB25_93
; %bb.84:
	v_lshl_or_b32 v6, s15, 8, v5
	v_dual_mov_b32 v7, 0 :: v_dual_mov_b32 v10, 0
	s_mov_b32 s2, 0
	s_mov_b32 s3, s15
	s_delay_alu instid0(VALU_DEP_1) | instskip(SKIP_1) | instid1(VALU_DEP_2)
	v_lshlrev_b64 v[2:3], 2, v[6:7]
	v_or_b32_e32 v6, 2.0, v15
	v_add_co_u32 v2, s0, s12, v2
	s_delay_alu instid0(VALU_DEP_1)
	v_add_co_ci_u32_e64 v3, s0, s13, v3, s0
                                        ; implicit-def: $sgpr0
	global_store_b32 v[2:3], v6, off
	s_branch .LBB25_87
	.p2align	6
.LBB25_85:                              ;   in Loop: Header=BB25_87 Depth=1
	s_or_b32 exec_lo, exec_lo, s5
.LBB25_86:                              ;   in Loop: Header=BB25_87 Depth=1
	s_delay_alu instid0(SALU_CYCLE_1) | instskip(SKIP_2) | instid1(VALU_DEP_2)
	s_or_b32 exec_lo, exec_lo, s4
	v_and_b32_e32 v8, 0x3fffffff, v11
	v_cmp_eq_u32_e64 s0, 0x80000000, v6
	v_add_nc_u32_e32 v10, v8, v10
	s_delay_alu instid0(VALU_DEP_2) | instskip(NEXT) | instid1(SALU_CYCLE_1)
	s_and_b32 s4, exec_lo, s0
	s_or_b32 s2, s4, s2
	s_delay_alu instid0(SALU_CYCLE_1)
	s_and_not1_b32 exec_lo, exec_lo, s2
	s_cbranch_execz .LBB25_92
.LBB25_87:                              ; =>This Loop Header: Depth=1
                                        ;     Child Loop BB25_90 Depth 2
	s_or_b32 s0, s0, exec_lo
	s_cmp_eq_u32 s3, 0
	s_cbranch_scc1 .LBB25_91
; %bb.88:                               ;   in Loop: Header=BB25_87 Depth=1
	s_add_i32 s3, s3, -1
	s_mov_b32 s4, exec_lo
	v_lshl_or_b32 v6, s3, 8, v5
	s_delay_alu instid0(VALU_DEP_1) | instskip(NEXT) | instid1(VALU_DEP_1)
	v_lshlrev_b64 v[8:9], 2, v[6:7]
	v_add_co_u32 v8, s0, s12, v8
	s_delay_alu instid0(VALU_DEP_1) | instskip(SKIP_3) | instid1(VALU_DEP_1)
	v_add_co_ci_u32_e64 v9, s0, s13, v9, s0
	global_load_b32 v11, v[8:9], off glc
	s_waitcnt vmcnt(0)
	v_and_b32_e32 v6, -2.0, v11
	v_cmpx_eq_u32_e32 0, v6
	s_cbranch_execz .LBB25_86
; %bb.89:                               ;   in Loop: Header=BB25_87 Depth=1
	s_mov_b32 s5, 0
.LBB25_90:                              ;   Parent Loop BB25_87 Depth=1
                                        ; =>  This Inner Loop Header: Depth=2
	global_load_b32 v11, v[8:9], off glc
	s_waitcnt vmcnt(0)
	v_and_b32_e32 v6, -2.0, v11
	s_delay_alu instid0(VALU_DEP_1) | instskip(NEXT) | instid1(VALU_DEP_1)
	v_cmp_ne_u32_e64 s0, 0, v6
	s_or_b32 s5, s0, s5
	s_delay_alu instid0(SALU_CYCLE_1)
	s_and_not1_b32 exec_lo, exec_lo, s5
	s_cbranch_execnz .LBB25_90
	s_branch .LBB25_85
.LBB25_91:                              ;   in Loop: Header=BB25_87 Depth=1
                                        ; implicit-def: $sgpr3
	s_and_b32 s4, exec_lo, s0
	s_delay_alu instid0(SALU_CYCLE_1) | instskip(NEXT) | instid1(SALU_CYCLE_1)
	s_or_b32 s2, s4, s2
	s_and_not1_b32 exec_lo, exec_lo, s2
	s_cbranch_execnz .LBB25_87
.LBB25_92:
	s_or_b32 exec_lo, exec_lo, s2
	v_add_nc_u32_e32 v6, v10, v15
	v_lshlrev_b32_e32 v7, 3, v5
	s_delay_alu instid0(VALU_DEP_2) | instskip(SKIP_3) | instid1(VALU_DEP_1)
	v_or_b32_e32 v6, 0x80000000, v6
	global_store_b32 v[2:3], v6, off
	global_load_b64 v[2:3], v7, s[24:25]
	v_sub_co_u32 v6, s0, v10, v0
	v_sub_co_ci_u32_e64 v8, s0, 0, v1, s0
	s_waitcnt vmcnt(0)
	s_delay_alu instid0(VALU_DEP_2) | instskip(SKIP_1) | instid1(VALU_DEP_3)
	v_add_co_u32 v2, s0, v6, v2
	v_mov_b32_e32 v6, 0
	v_add_co_ci_u32_e64 v3, s0, v8, v3, s0
	ds_store_b64 v7, v[2:3]
.LBB25_93:
	s_or_b32 exec_lo, exec_lo, s1
	v_lshlrev_b32_e32 v2, 3, v14
	s_lshl_b64 s[0:1], s[6:7], 3
	v_lshlrev_b32_e32 v3, 3, v4
	s_add_u32 s0, s20, s0
	s_addc_u32 s1, s21, s1
	v_add_co_u32 v2, s0, s0, v2
	s_delay_alu instid0(VALU_DEP_1) | instskip(SKIP_2) | instid1(VALU_DEP_2)
	v_add_co_ci_u32_e64 v4, null, s1, 0, s0
	s_waitcnt lgkmcnt(0)
	s_waitcnt_vscnt null, 0x0
	v_add_co_u32 v2, s0, v2, v3
	s_delay_alu instid0(VALU_DEP_1)
	v_add_co_ci_u32_e64 v3, s0, 0, v4, s0
	s_barrier
	buffer_gl0_inv
	v_lshlrev_b32_e32 v4, 1, v5
	s_clause 0x3
	global_load_b64 v[7:8], v[2:3], off
	global_load_b64 v[9:10], v[2:3], off offset:256
	global_load_b64 v[11:12], v[2:3], off offset:512
	;; [unrolled: 1-line block ×3, first 2 shown]
	v_lshlrev_b32_e32 v29, 1, v5
	v_lshlrev_b32_e32 v40, 3, v18
	v_lshlrev_b32_e32 v41, 3, v17
	ds_load_u16 v28, v4 offset:8192
	v_or_b32_e32 v37, 0x800, v5
	ds_load_u16 v30, v29 offset:2048
	ds_load_u16 v31, v4 offset:4096
	v_or_b32_e32 v38, 0xc00, v5
	v_lshlrev_b32_e32 v39, 3, v21
	v_lshlrev_b32_e32 v21, 1, v37
	;; [unrolled: 1-line block ×3, first 2 shown]
	s_add_i32 s9, s9, -1
	v_lshlrev_b32_e32 v42, 1, v38
	s_cmp_eq_u32 s15, s9
	s_cselect_b32 s1, -1, 0
	s_delay_alu instid0(SALU_CYCLE_1)
	s_and_b32 s1, vcc_lo, s1
	s_waitcnt lgkmcnt(2)
	v_and_b32_e32 v13, 0xffff, v28
	s_waitcnt lgkmcnt(1)
	v_and_b32_e32 v19, 0xffff, v30
	;; [unrolled: 2-line block ×3, first 2 shown]
	v_lshrrev_b32_e32 v13, s28, v13
	s_delay_alu instid0(VALU_DEP_3) | instskip(NEXT) | instid1(VALU_DEP_3)
	v_lshrrev_b32_e32 v19, s28, v19
	v_lshrrev_b32_e32 v20, s28, v20
	s_delay_alu instid0(VALU_DEP_3) | instskip(NEXT) | instid1(VALU_DEP_3)
	v_and_b32_e32 v13, s10, v13
	v_and_b32_e32 v19, s10, v19
	s_delay_alu instid0(VALU_DEP_3) | instskip(NEXT) | instid1(VALU_DEP_3)
	v_and_b32_e32 v20, s10, v20
	v_lshlrev_b32_e32 v32, 3, v13
	ds_load_b64 v[13:14], v32
	ds_load_u16 v33, v4 offset:6144
	v_lshlrev_b32_e32 v34, 3, v19
	v_lshlrev_b32_e32 v35, 3, v20
	v_or_b32_e32 v4, 0x800, v4
	ds_load_b64 v[19:20], v34
	v_mad_u32_u24 v4, v5, 6, v4
	s_waitcnt lgkmcnt(2)
	v_lshlrev_b64 v[13:14], 1, v[13:14]
	s_waitcnt lgkmcnt(1)
	v_and_b32_e32 v22, 0xffff, v33
	s_delay_alu instid0(VALU_DEP_1) | instskip(SKIP_2) | instid1(VALU_DEP_1)
	v_lshrrev_b32_e32 v24, s28, v22
	ds_load_b64 v[22:23], v35
	v_and_b32_e32 v24, s10, v24
	v_lshlrev_b32_e32 v36, 3, v24
	v_lshlrev_b64 v[24:25], 1, v[5:6]
	ds_load_b64 v[26:27], v36
	s_waitcnt lgkmcnt(2)
	v_lshlrev_b64 v[17:18], 1, v[19:20]
	s_waitcnt lgkmcnt(1)
	v_lshlrev_b64 v[19:20], 1, v[22:23]
	s_delay_alu instid0(VALU_DEP_2) | instskip(NEXT) | instid1(VALU_DEP_1)
	v_add_co_u32 v17, s0, s18, v17
	v_add_co_ci_u32_e64 v18, s0, s19, v18, s0
	s_delay_alu instid0(VALU_DEP_3) | instskip(NEXT) | instid1(VALU_DEP_1)
	v_add_co_u32 v19, s0, s18, v19
	v_add_co_ci_u32_e64 v20, s0, s19, v20, s0
	v_add_co_u32 v22, s0, s18, v13
	s_delay_alu instid0(VALU_DEP_1) | instskip(SKIP_3) | instid1(VALU_DEP_1)
	v_add_co_ci_u32_e64 v23, s0, s19, v14, s0
	s_waitcnt lgkmcnt(0)
	v_lshlrev_b64 v[13:14], 1, v[26:27]
	v_add_co_u32 v17, s0, v17, v24
	v_add_co_ci_u32_e64 v18, s0, v18, v25, s0
	s_delay_alu instid0(VALU_DEP_3) | instskip(NEXT) | instid1(VALU_DEP_1)
	v_add_co_u32 v26, s0, s18, v13
	v_add_co_ci_u32_e64 v27, s0, s19, v14, s0
	v_add_co_u32 v13, s0, v19, v24
	s_delay_alu instid0(VALU_DEP_1) | instskip(NEXT) | instid1(VALU_DEP_4)
	v_add_co_ci_u32_e64 v14, s0, v20, v25, s0
	v_add_co_u32 v19, s0, v26, v21
	s_delay_alu instid0(VALU_DEP_1) | instskip(SKIP_1) | instid1(VALU_DEP_1)
	v_add_co_ci_u32_e64 v20, s0, 0, v27, s0
	v_add_co_u32 v21, s0, v22, v42
	v_add_co_ci_u32_e64 v22, s0, 0, v23, s0
	s_clause 0x3
	global_store_b16 v[17:18], v30, off
	global_store_b16 v[13:14], v31, off offset:2048
	global_store_b16 v[19:20], v33, off
	global_store_b16 v[21:22], v28, off
	s_waitcnt vmcnt(0)
	s_waitcnt_vscnt null, 0x0
	s_barrier
	buffer_gl0_inv
	v_mad_i32_i24 v20, v5, 6, v29
	v_lshlrev_b64 v[18:19], 3, v[5:6]
	v_lshl_or_b32 v24, v5, 3, 0x2000
	v_lshlrev_b32_e32 v25, 3, v37
	v_lshlrev_b32_e32 v26, 3, v38
	ds_store_b64 v39, v[7:8] offset:2048
	ds_store_b64 v40, v[9:10] offset:2048
	;; [unrolled: 1-line block ×4, first 2 shown]
	s_waitcnt lgkmcnt(0)
	s_barrier
	buffer_gl0_inv
	ds_load_b64 v[2:3], v34
	ds_load_b64 v[11:12], v35
	;; [unrolled: 1-line block ×4, first 2 shown]
	ds_load_2addr_stride64_b64 v[7:10], v4 offset0:16 offset1:32
	ds_load_b64 v[20:21], v20 offset:2048
	ds_load_b64 v[22:23], v4 offset:24576
	s_waitcnt lgkmcnt(6)
	v_lshlrev_b64 v[2:3], 3, v[2:3]
	s_waitcnt lgkmcnt(5)
	v_lshlrev_b64 v[11:12], 3, v[11:12]
	;; [unrolled: 2-line block ×4, first 2 shown]
	v_add_co_u32 v2, s0, s22, v2
	s_delay_alu instid0(VALU_DEP_1) | instskip(SKIP_1) | instid1(VALU_DEP_1)
	v_add_co_ci_u32_e64 v3, s0, s23, v3, s0
	v_add_co_u32 v4, s0, s22, v11
	v_add_co_ci_u32_e64 v12, s0, s23, v12, s0
	v_add_co_u32 v13, s0, s22, v13
	s_delay_alu instid0(VALU_DEP_1) | instskip(SKIP_1) | instid1(VALU_DEP_1)
	v_add_co_ci_u32_e64 v14, s0, s23, v14, s0
	v_add_co_u32 v16, s0, s22, v16
	v_add_co_ci_u32_e64 v17, s0, s23, v17, s0
	;; [unrolled: 5-line block ×4, first 2 shown]
	s_waitcnt lgkmcnt(1)
	s_clause 0x2
	global_store_b64 v[2:3], v[20:21], off
	global_store_b64 v[11:12], v[7:8], off
	;; [unrolled: 1-line block ×3, first 2 shown]
	s_waitcnt lgkmcnt(0)
	global_store_b64 v[16:17], v[22:23], off
                                        ; implicit-def: $vgpr2_vgpr3
	s_and_saveexec_b32 s0, s1
; %bb.94:
	v_add_co_u32 v2, vcc_lo, v0, v15
	v_add_co_ci_u32_e32 v3, vcc_lo, 0, v1, vcc_lo
	s_or_b32 s8, s8, exec_lo
; %bb.95:
	s_or_b32 exec_lo, exec_lo, s0
.LBB25_96:
	s_and_saveexec_b32 s0, s8
	s_cbranch_execnz .LBB25_98
; %bb.97:
	s_nop 0
	s_sendmsg sendmsg(MSG_DEALLOC_VGPRS)
	s_endpgm
.LBB25_98:
	v_lshlrev_b32_e32 v0, 3, v5
	v_lshlrev_b64 v[4:5], 3, v[5:6]
	ds_load_b64 v[0:1], v0
	v_add_co_u32 v4, vcc_lo, s26, v4
	v_add_co_ci_u32_e32 v5, vcc_lo, s27, v5, vcc_lo
	s_waitcnt lgkmcnt(0)
	v_add_co_u32 v0, vcc_lo, v0, v2
	v_add_co_ci_u32_e32 v1, vcc_lo, v1, v3, vcc_lo
	global_store_b64 v[4:5], v[0:1], off
	s_nop 0
	s_sendmsg sendmsg(MSG_DEALLOC_VGPRS)
	s_endpgm
.LBB25_99:
	global_load_b64 v[6:7], v[1:2], off
	s_or_b32 exec_lo, exec_lo, s10
                                        ; implicit-def: $vgpr8_vgpr9
	s_and_saveexec_b32 s10, s2
	s_cbranch_execz .LBB25_47
.LBB25_100:
	global_load_b64 v[8:9], v[1:2], off offset:256
	s_or_b32 exec_lo, exec_lo, s10
                                        ; implicit-def: $vgpr10_vgpr11
	s_and_saveexec_b32 s2, s3
	s_cbranch_execz .LBB25_48
.LBB25_101:
	global_load_b64 v[10:11], v[1:2], off offset:512
	s_or_b32 exec_lo, exec_lo, s2
                                        ; implicit-def: $vgpr12_vgpr13
	s_and_saveexec_b32 s2, s4
	s_cbranch_execz .LBB25_49
.LBB25_102:
	global_load_b64 v[12:13], v[1:2], off offset:768
	s_or_b32 exec_lo, exec_lo, s2
                                        ; implicit-def: $vgpr1_vgpr2_vgpr3_vgpr4
	s_and_saveexec_b32 s2, s6
	s_cbranch_execz .LBB25_50
.LBB25_103:
	ds_load_u16 v1, v24 offset:2048
	s_waitcnt lgkmcnt(0)
	v_lshrrev_b32_e32 v1, s28, v1
	s_delay_alu instid0(VALU_DEP_1)
	v_and_b32_e32 v1, s33, v1
	s_or_b32 exec_lo, exec_lo, s2
	s_and_saveexec_b32 s2, s7
	s_cbranch_execz .LBB25_51
.LBB25_104:
	ds_load_u16 v2, v24 offset:4096
	s_waitcnt lgkmcnt(0)
	v_lshrrev_b32_e32 v2, s28, v2
	s_delay_alu instid0(VALU_DEP_1)
	v_and_b32_e32 v2, s33, v2
	s_or_b32 exec_lo, exec_lo, s2
	s_and_saveexec_b32 s2, s8
	s_cbranch_execz .LBB25_52
.LBB25_105:
	ds_load_u16 v3, v24 offset:6144
	s_waitcnt lgkmcnt(0)
	v_lshrrev_b32_e32 v3, s28, v3
	s_delay_alu instid0(VALU_DEP_1)
	v_and_b32_e32 v3, s33, v3
	s_or_b32 exec_lo, exec_lo, s2
	s_and_saveexec_b32 s2, s9
	s_cbranch_execnz .LBB25_53
	s_branch .LBB25_54
.LBB25_106:
	v_lshlrev_b32_e32 v1, 3, v1
	ds_load_b64 v[7:8], v1
	ds_load_b64 v[9:10], v6 offset:2048
	s_waitcnt lgkmcnt(1)
	v_lshlrev_b64 v[7:8], 3, v[7:8]
	s_delay_alu instid0(VALU_DEP_1) | instskip(NEXT) | instid1(VALU_DEP_2)
	v_add_co_u32 v1, vcc_lo, s22, v7
	v_add_co_ci_u32_e32 v8, vcc_lo, s23, v8, vcc_lo
	s_delay_alu instid0(VALU_DEP_2) | instskip(NEXT) | instid1(VALU_DEP_2)
	v_add_co_u32 v7, vcc_lo, v1, v6
	v_add_co_ci_u32_e32 v8, vcc_lo, 0, v8, vcc_lo
	s_waitcnt lgkmcnt(0)
	global_store_b64 v[7:8], v[9:10], off
	s_or_b32 exec_lo, exec_lo, s2
	s_and_saveexec_b32 s2, s7
	s_cbranch_execz .LBB25_56
.LBB25_107:
	v_lshlrev_b32_e32 v1, 3, v2
	v_lshlrev_b32_e32 v9, 3, v15
	ds_load_b64 v[1:2], v1
	ds_load_b64 v[7:8], v6 offset:10240
	s_waitcnt lgkmcnt(1)
	v_lshlrev_b64 v[1:2], 3, v[1:2]
	s_delay_alu instid0(VALU_DEP_1) | instskip(NEXT) | instid1(VALU_DEP_2)
	v_add_co_u32 v1, vcc_lo, s22, v1
	v_add_co_ci_u32_e32 v2, vcc_lo, s23, v2, vcc_lo
	s_delay_alu instid0(VALU_DEP_2) | instskip(NEXT) | instid1(VALU_DEP_2)
	v_add_co_u32 v1, vcc_lo, v1, v9
	v_add_co_ci_u32_e32 v2, vcc_lo, 0, v2, vcc_lo
	s_waitcnt lgkmcnt(0)
	global_store_b64 v[1:2], v[7:8], off
	s_or_b32 exec_lo, exec_lo, s2
	s_and_saveexec_b32 s2, s8
	s_cbranch_execz .LBB25_57
.LBB25_108:
	v_lshlrev_b32_e32 v1, 3, v3
	v_lshlrev_b32_e32 v3, 3, v21
	ds_load_b64 v[1:2], v1
	ds_load_b64 v[7:8], v6 offset:18432
	s_waitcnt lgkmcnt(1)
	v_lshlrev_b64 v[1:2], 3, v[1:2]
	s_delay_alu instid0(VALU_DEP_1) | instskip(NEXT) | instid1(VALU_DEP_2)
	v_add_co_u32 v1, vcc_lo, s22, v1
	v_add_co_ci_u32_e32 v2, vcc_lo, s23, v2, vcc_lo
	s_delay_alu instid0(VALU_DEP_2) | instskip(NEXT) | instid1(VALU_DEP_2)
	v_add_co_u32 v1, vcc_lo, v1, v3
	v_add_co_ci_u32_e32 v2, vcc_lo, 0, v2, vcc_lo
	s_waitcnt lgkmcnt(0)
	global_store_b64 v[1:2], v[7:8], off
	s_or_b32 exec_lo, exec_lo, s2
	s_and_saveexec_b32 s2, s9
	s_cbranch_execnz .LBB25_58
	s_branch .LBB25_59
	.section	.rodata,"a",@progbits
	.p2align	6, 0x0
	.amdhsa_kernel _ZN7rocprim17ROCPRIM_304000_NS6detail25onesweep_iteration_kernelINS1_34wrapped_radix_sort_onesweep_configINS0_14default_configEtN2at4cuda3cub6detail10OpaqueTypeILi8EEEEELb0EPtSC_PSA_SD_mNS0_19identity_decomposerEEEvT1_T2_T3_T4_jPT5_SK_PNS1_23onesweep_lookback_stateET6_jjj
		.amdhsa_group_segment_fixed_size 36992
		.amdhsa_private_segment_fixed_size 0
		.amdhsa_kernarg_size 336
		.amdhsa_user_sgpr_count 15
		.amdhsa_user_sgpr_dispatch_ptr 0
		.amdhsa_user_sgpr_queue_ptr 0
		.amdhsa_user_sgpr_kernarg_segment_ptr 1
		.amdhsa_user_sgpr_dispatch_id 0
		.amdhsa_user_sgpr_private_segment_size 0
		.amdhsa_wavefront_size32 1
		.amdhsa_uses_dynamic_stack 0
		.amdhsa_enable_private_segment 0
		.amdhsa_system_sgpr_workgroup_id_x 1
		.amdhsa_system_sgpr_workgroup_id_y 0
		.amdhsa_system_sgpr_workgroup_id_z 0
		.amdhsa_system_sgpr_workgroup_info 0
		.amdhsa_system_vgpr_workitem_id 2
		.amdhsa_next_free_vgpr 43
		.amdhsa_next_free_sgpr 36
		.amdhsa_reserve_vcc 1
		.amdhsa_float_round_mode_32 0
		.amdhsa_float_round_mode_16_64 0
		.amdhsa_float_denorm_mode_32 3
		.amdhsa_float_denorm_mode_16_64 3
		.amdhsa_dx10_clamp 1
		.amdhsa_ieee_mode 1
		.amdhsa_fp16_overflow 0
		.amdhsa_workgroup_processor_mode 1
		.amdhsa_memory_ordered 1
		.amdhsa_forward_progress 0
		.amdhsa_shared_vgpr_count 0
		.amdhsa_exception_fp_ieee_invalid_op 0
		.amdhsa_exception_fp_denorm_src 0
		.amdhsa_exception_fp_ieee_div_zero 0
		.amdhsa_exception_fp_ieee_overflow 0
		.amdhsa_exception_fp_ieee_underflow 0
		.amdhsa_exception_fp_ieee_inexact 0
		.amdhsa_exception_int_div_zero 0
	.end_amdhsa_kernel
	.section	.text._ZN7rocprim17ROCPRIM_304000_NS6detail25onesweep_iteration_kernelINS1_34wrapped_radix_sort_onesweep_configINS0_14default_configEtN2at4cuda3cub6detail10OpaqueTypeILi8EEEEELb0EPtSC_PSA_SD_mNS0_19identity_decomposerEEEvT1_T2_T3_T4_jPT5_SK_PNS1_23onesweep_lookback_stateET6_jjj,"axG",@progbits,_ZN7rocprim17ROCPRIM_304000_NS6detail25onesweep_iteration_kernelINS1_34wrapped_radix_sort_onesweep_configINS0_14default_configEtN2at4cuda3cub6detail10OpaqueTypeILi8EEEEELb0EPtSC_PSA_SD_mNS0_19identity_decomposerEEEvT1_T2_T3_T4_jPT5_SK_PNS1_23onesweep_lookback_stateET6_jjj,comdat
.Lfunc_end25:
	.size	_ZN7rocprim17ROCPRIM_304000_NS6detail25onesweep_iteration_kernelINS1_34wrapped_radix_sort_onesweep_configINS0_14default_configEtN2at4cuda3cub6detail10OpaqueTypeILi8EEEEELb0EPtSC_PSA_SD_mNS0_19identity_decomposerEEEvT1_T2_T3_T4_jPT5_SK_PNS1_23onesweep_lookback_stateET6_jjj, .Lfunc_end25-_ZN7rocprim17ROCPRIM_304000_NS6detail25onesweep_iteration_kernelINS1_34wrapped_radix_sort_onesweep_configINS0_14default_configEtN2at4cuda3cub6detail10OpaqueTypeILi8EEEEELb0EPtSC_PSA_SD_mNS0_19identity_decomposerEEEvT1_T2_T3_T4_jPT5_SK_PNS1_23onesweep_lookback_stateET6_jjj
                                        ; -- End function
	.section	.AMDGPU.csdata,"",@progbits
; Kernel info:
; codeLenInByte = 8992
; NumSgprs: 38
; NumVgprs: 43
; ScratchSize: 0
; MemoryBound: 0
; FloatMode: 240
; IeeeMode: 1
; LDSByteSize: 36992 bytes/workgroup (compile time only)
; SGPRBlocks: 4
; VGPRBlocks: 5
; NumSGPRsForWavesPerEU: 38
; NumVGPRsForWavesPerEU: 43
; Occupancy: 16
; WaveLimiterHint : 1
; COMPUTE_PGM_RSRC2:SCRATCH_EN: 0
; COMPUTE_PGM_RSRC2:USER_SGPR: 15
; COMPUTE_PGM_RSRC2:TRAP_HANDLER: 0
; COMPUTE_PGM_RSRC2:TGID_X_EN: 1
; COMPUTE_PGM_RSRC2:TGID_Y_EN: 0
; COMPUTE_PGM_RSRC2:TGID_Z_EN: 0
; COMPUTE_PGM_RSRC2:TIDIG_COMP_CNT: 2
	.text
	.p2alignl 7, 3214868480
	.fill 96, 4, 3214868480
	.type	__hip_cuid_cd0955b4d6c6525e,@object ; @__hip_cuid_cd0955b4d6c6525e
	.section	.bss,"aw",@nobits
	.globl	__hip_cuid_cd0955b4d6c6525e
__hip_cuid_cd0955b4d6c6525e:
	.byte	0                               ; 0x0
	.size	__hip_cuid_cd0955b4d6c6525e, 1

	.ident	"AMD clang version 19.0.0git (https://github.com/RadeonOpenCompute/llvm-project roc-6.4.0 25133 c7fe45cf4b819c5991fe208aaa96edf142730f1d)"
	.section	".note.GNU-stack","",@progbits
	.addrsig
	.addrsig_sym __hip_cuid_cd0955b4d6c6525e
	.amdgpu_metadata
---
amdhsa.kernels:
  - .args:
      - .address_space:  global
        .offset:         0
        .size:           8
        .value_kind:     global_buffer
      - .address_space:  global
        .offset:         8
        .size:           8
        .value_kind:     global_buffer
      - .address_space:  global
        .offset:         16
        .size:           8
        .value_kind:     global_buffer
      - .address_space:  global
        .offset:         24
        .size:           8
        .value_kind:     global_buffer
      - .offset:         32
        .size:           4
        .value_kind:     by_value
      - .offset:         36
        .size:           1
        .value_kind:     by_value
      - .offset:         40
        .size:           4
        .value_kind:     by_value
      - .offset:         44
        .size:           4
        .value_kind:     by_value
      - .offset:         48
        .size:           4
        .value_kind:     hidden_block_count_x
      - .offset:         52
        .size:           4
        .value_kind:     hidden_block_count_y
      - .offset:         56
        .size:           4
        .value_kind:     hidden_block_count_z
      - .offset:         60
        .size:           2
        .value_kind:     hidden_group_size_x
      - .offset:         62
        .size:           2
        .value_kind:     hidden_group_size_y
      - .offset:         64
        .size:           2
        .value_kind:     hidden_group_size_z
      - .offset:         66
        .size:           2
        .value_kind:     hidden_remainder_x
      - .offset:         68
        .size:           2
        .value_kind:     hidden_remainder_y
      - .offset:         70
        .size:           2
        .value_kind:     hidden_remainder_z
      - .offset:         88
        .size:           8
        .value_kind:     hidden_global_offset_x
      - .offset:         96
        .size:           8
        .value_kind:     hidden_global_offset_y
      - .offset:         104
        .size:           8
        .value_kind:     hidden_global_offset_z
      - .offset:         112
        .size:           2
        .value_kind:     hidden_grid_dims
    .group_segment_fixed_size: 8224
    .kernarg_segment_align: 8
    .kernarg_segment_size: 304
    .language:       OpenCL C
    .language_version:
      - 2
      - 0
    .max_flat_workgroup_size: 256
    .name:           _ZN7rocprim17ROCPRIM_304000_NS6detail28radix_sort_block_sort_kernelINS1_36wrapped_radix_sort_block_sort_configINS0_13kernel_configILj256ELj4ELj4294967295EEEtN2at4cuda3cub6detail10OpaqueTypeILi8EEEEELb1EPKtPtPKSB_PSB_NS0_19identity_decomposerEEEvT1_T2_T3_T4_jT5_jj
    .private_segment_fixed_size: 0
    .sgpr_count:     34
    .sgpr_spill_count: 0
    .symbol:         _ZN7rocprim17ROCPRIM_304000_NS6detail28radix_sort_block_sort_kernelINS1_36wrapped_radix_sort_block_sort_configINS0_13kernel_configILj256ELj4ELj4294967295EEEtN2at4cuda3cub6detail10OpaqueTypeILi8EEEEELb1EPKtPtPKSB_PSB_NS0_19identity_decomposerEEEvT1_T2_T3_T4_jT5_jj.kd
    .uniform_work_group_size: 1
    .uses_dynamic_stack: false
    .vgpr_count:     53
    .vgpr_spill_count: 0
    .wavefront_size: 32
    .workgroup_processor_mode: 1
  - .args:           []
    .group_segment_fixed_size: 0
    .kernarg_segment_align: 4
    .kernarg_segment_size: 0
    .language:       OpenCL C
    .language_version:
      - 2
      - 0
    .max_flat_workgroup_size: 1024
    .name:           _ZN7rocprim17ROCPRIM_304000_NS6detail39device_merge_sort_compile_time_verifierINS1_36wrapped_merge_sort_block_sort_configINS1_28merge_sort_block_sort_configILj256ELj4ELNS0_20block_sort_algorithmE0EEEtN2at4cuda3cub6detail10OpaqueTypeILi8EEEEENS1_37wrapped_merge_sort_block_merge_configINS0_14default_configEtSC_EEEEvv
    .private_segment_fixed_size: 0
    .sgpr_count:     0
    .sgpr_spill_count: 0
    .symbol:         _ZN7rocprim17ROCPRIM_304000_NS6detail39device_merge_sort_compile_time_verifierINS1_36wrapped_merge_sort_block_sort_configINS1_28merge_sort_block_sort_configILj256ELj4ELNS0_20block_sort_algorithmE0EEEtN2at4cuda3cub6detail10OpaqueTypeILi8EEEEENS1_37wrapped_merge_sort_block_merge_configINS0_14default_configEtSC_EEEEvv.kd
    .uniform_work_group_size: 1
    .uses_dynamic_stack: false
    .vgpr_count:     0
    .vgpr_spill_count: 0
    .wavefront_size: 32
    .workgroup_processor_mode: 1
  - .args:
      - .address_space:  global
        .offset:         0
        .size:           8
        .value_kind:     global_buffer
      - .offset:         8
        .size:           4
        .value_kind:     by_value
      - .offset:         12
        .size:           4
        .value_kind:     by_value
      - .address_space:  global
        .offset:         16
        .size:           8
        .value_kind:     global_buffer
      - .offset:         24
        .size:           1
        .value_kind:     by_value
      - .offset:         28
        .size:           4
        .value_kind:     by_value
    .group_segment_fixed_size: 0
    .kernarg_segment_align: 8
    .kernarg_segment_size: 32
    .language:       OpenCL C
    .language_version:
      - 2
      - 0
    .max_flat_workgroup_size: 128
    .name:           _ZN7rocprim17ROCPRIM_304000_NS6detail45device_block_merge_mergepath_partition_kernelINS1_37wrapped_merge_sort_block_merge_configINS0_14default_configEtN2at4cuda3cub6detail10OpaqueTypeILi8EEEEEPtjNS1_19radix_merge_compareILb1ELb0EtNS0_19identity_decomposerEEEEEvT0_T1_jPSH_T2_SH_
    .private_segment_fixed_size: 0
    .sgpr_count:     18
    .sgpr_spill_count: 0
    .symbol:         _ZN7rocprim17ROCPRIM_304000_NS6detail45device_block_merge_mergepath_partition_kernelINS1_37wrapped_merge_sort_block_merge_configINS0_14default_configEtN2at4cuda3cub6detail10OpaqueTypeILi8EEEEEPtjNS1_19radix_merge_compareILb1ELb0EtNS0_19identity_decomposerEEEEEvT0_T1_jPSH_T2_SH_.kd
    .uniform_work_group_size: 1
    .uses_dynamic_stack: false
    .vgpr_count:     16
    .vgpr_spill_count: 0
    .wavefront_size: 32
    .workgroup_processor_mode: 1
  - .args:
      - .address_space:  global
        .offset:         0
        .size:           8
        .value_kind:     global_buffer
      - .address_space:  global
        .offset:         8
        .size:           8
        .value_kind:     global_buffer
      - .address_space:  global
        .offset:         16
        .size:           8
        .value_kind:     global_buffer
      - .address_space:  global
        .offset:         24
        .size:           8
        .value_kind:     global_buffer
      - .offset:         32
        .size:           4
        .value_kind:     by_value
      - .offset:         36
        .size:           4
        .value_kind:     by_value
      - .offset:         40
        .size:           4
        .value_kind:     by_value
      - .offset:         44
        .size:           1
        .value_kind:     by_value
      - .address_space:  global
        .offset:         48
        .size:           8
        .value_kind:     global_buffer
      - .address_space:  global
        .offset:         56
        .size:           8
        .value_kind:     global_buffer
      - .offset:         64
        .size:           4
        .value_kind:     hidden_block_count_x
      - .offset:         68
        .size:           4
        .value_kind:     hidden_block_count_y
      - .offset:         72
        .size:           4
        .value_kind:     hidden_block_count_z
      - .offset:         76
        .size:           2
        .value_kind:     hidden_group_size_x
      - .offset:         78
        .size:           2
        .value_kind:     hidden_group_size_y
      - .offset:         80
        .size:           2
        .value_kind:     hidden_group_size_z
      - .offset:         82
        .size:           2
        .value_kind:     hidden_remainder_x
      - .offset:         84
        .size:           2
        .value_kind:     hidden_remainder_y
      - .offset:         86
        .size:           2
        .value_kind:     hidden_remainder_z
      - .offset:         104
        .size:           8
        .value_kind:     hidden_global_offset_x
      - .offset:         112
        .size:           8
        .value_kind:     hidden_global_offset_y
      - .offset:         120
        .size:           8
        .value_kind:     hidden_global_offset_z
      - .offset:         128
        .size:           2
        .value_kind:     hidden_grid_dims
    .group_segment_fixed_size: 8208
    .kernarg_segment_align: 8
    .kernarg_segment_size: 320
    .language:       OpenCL C
    .language_version:
      - 2
      - 0
    .max_flat_workgroup_size: 512
    .name:           _ZN7rocprim17ROCPRIM_304000_NS6detail35device_block_merge_mergepath_kernelINS1_37wrapped_merge_sort_block_merge_configINS0_14default_configEtN2at4cuda3cub6detail10OpaqueTypeILi8EEEEEPtSC_PSA_SD_jNS1_19radix_merge_compareILb1ELb0EtNS0_19identity_decomposerEEEEEvT0_T1_T2_T3_T4_SL_jT5_PKSL_NS1_7vsmem_tE
    .private_segment_fixed_size: 0
    .sgpr_count:     32
    .sgpr_spill_count: 0
    .symbol:         _ZN7rocprim17ROCPRIM_304000_NS6detail35device_block_merge_mergepath_kernelINS1_37wrapped_merge_sort_block_merge_configINS0_14default_configEtN2at4cuda3cub6detail10OpaqueTypeILi8EEEEEPtSC_PSA_SD_jNS1_19radix_merge_compareILb1ELb0EtNS0_19identity_decomposerEEEEEvT0_T1_T2_T3_T4_SL_jT5_PKSL_NS1_7vsmem_tE.kd
    .uniform_work_group_size: 1
    .uses_dynamic_stack: false
    .vgpr_count:     15
    .vgpr_spill_count: 0
    .wavefront_size: 32
    .workgroup_processor_mode: 1
  - .args:
      - .address_space:  global
        .offset:         0
        .size:           8
        .value_kind:     global_buffer
      - .address_space:  global
        .offset:         8
        .size:           8
        .value_kind:     global_buffer
      - .address_space:  global
        .offset:         16
        .size:           8
        .value_kind:     global_buffer
      - .address_space:  global
        .offset:         24
        .size:           8
        .value_kind:     global_buffer
      - .offset:         32
        .size:           4
        .value_kind:     by_value
      - .offset:         36
        .size:           4
        .value_kind:     by_value
      - .offset:         40
        .size:           1
        .value_kind:     by_value
    .group_segment_fixed_size: 0
    .kernarg_segment_align: 8
    .kernarg_segment_size: 44
    .language:       OpenCL C
    .language_version:
      - 2
      - 0
    .max_flat_workgroup_size: 256
    .name:           _ZN7rocprim17ROCPRIM_304000_NS6detail33device_block_merge_oddeven_kernelINS1_37wrapped_merge_sort_block_merge_configINS0_14default_configEtN2at4cuda3cub6detail10OpaqueTypeILi8EEEEEPtSC_PSA_SD_jNS1_19radix_merge_compareILb1ELb0EtNS0_19identity_decomposerEEEEEvT0_T1_T2_T3_T4_SL_T5_
    .private_segment_fixed_size: 0
    .sgpr_count:     22
    .sgpr_spill_count: 0
    .symbol:         _ZN7rocprim17ROCPRIM_304000_NS6detail33device_block_merge_oddeven_kernelINS1_37wrapped_merge_sort_block_merge_configINS0_14default_configEtN2at4cuda3cub6detail10OpaqueTypeILi8EEEEEPtSC_PSA_SD_jNS1_19radix_merge_compareILb1ELb0EtNS0_19identity_decomposerEEEEEvT0_T1_T2_T3_T4_SL_T5_.kd
    .uniform_work_group_size: 1
    .uses_dynamic_stack: false
    .vgpr_count:     12
    .vgpr_spill_count: 0
    .wavefront_size: 32
    .workgroup_processor_mode: 1
  - .args:
      - .address_space:  global
        .offset:         0
        .size:           8
        .value_kind:     global_buffer
      - .offset:         8
        .size:           8
        .value_kind:     by_value
      - .address_space:  global
        .offset:         16
        .size:           8
        .value_kind:     global_buffer
      - .offset:         24
        .size:           1
        .value_kind:     by_value
      - .offset:         32
        .size:           4
        .value_kind:     hidden_block_count_x
      - .offset:         36
        .size:           4
        .value_kind:     hidden_block_count_y
      - .offset:         40
        .size:           4
        .value_kind:     hidden_block_count_z
      - .offset:         44
        .size:           2
        .value_kind:     hidden_group_size_x
      - .offset:         46
        .size:           2
        .value_kind:     hidden_group_size_y
      - .offset:         48
        .size:           2
        .value_kind:     hidden_group_size_z
      - .offset:         50
        .size:           2
        .value_kind:     hidden_remainder_x
      - .offset:         52
        .size:           2
        .value_kind:     hidden_remainder_y
      - .offset:         54
        .size:           2
        .value_kind:     hidden_remainder_z
      - .offset:         72
        .size:           8
        .value_kind:     hidden_global_offset_x
      - .offset:         80
        .size:           8
        .value_kind:     hidden_global_offset_y
      - .offset:         88
        .size:           8
        .value_kind:     hidden_global_offset_z
      - .offset:         96
        .size:           2
        .value_kind:     hidden_grid_dims
    .group_segment_fixed_size: 0
    .kernarg_segment_align: 8
    .kernarg_segment_size: 288
    .language:       OpenCL C
    .language_version:
      - 2
      - 0
    .max_flat_workgroup_size: 1024
    .name:           _ZN7rocprim17ROCPRIM_304000_NS6detail16transform_kernelINS1_24wrapped_transform_configINS0_14default_configEtEEtPtS6_NS0_8identityItEEEEvT1_mT2_T3_
    .private_segment_fixed_size: 0
    .sgpr_count:     18
    .sgpr_spill_count: 0
    .symbol:         _ZN7rocprim17ROCPRIM_304000_NS6detail16transform_kernelINS1_24wrapped_transform_configINS0_14default_configEtEEtPtS6_NS0_8identityItEEEEvT1_mT2_T3_.kd
    .uniform_work_group_size: 1
    .uses_dynamic_stack: false
    .vgpr_count:     6
    .vgpr_spill_count: 0
    .wavefront_size: 32
    .workgroup_processor_mode: 1
  - .args:
      - .address_space:  global
        .offset:         0
        .size:           8
        .value_kind:     global_buffer
      - .offset:         8
        .size:           8
        .value_kind:     by_value
      - .address_space:  global
        .offset:         16
        .size:           8
        .value_kind:     global_buffer
      - .offset:         24
        .size:           1
        .value_kind:     by_value
      - .offset:         32
        .size:           4
        .value_kind:     hidden_block_count_x
      - .offset:         36
        .size:           4
        .value_kind:     hidden_block_count_y
      - .offset:         40
        .size:           4
        .value_kind:     hidden_block_count_z
      - .offset:         44
        .size:           2
        .value_kind:     hidden_group_size_x
      - .offset:         46
        .size:           2
        .value_kind:     hidden_group_size_y
      - .offset:         48
        .size:           2
        .value_kind:     hidden_group_size_z
      - .offset:         50
        .size:           2
        .value_kind:     hidden_remainder_x
      - .offset:         52
        .size:           2
        .value_kind:     hidden_remainder_y
      - .offset:         54
        .size:           2
        .value_kind:     hidden_remainder_z
      - .offset:         72
        .size:           8
        .value_kind:     hidden_global_offset_x
      - .offset:         80
        .size:           8
        .value_kind:     hidden_global_offset_y
      - .offset:         88
        .size:           8
        .value_kind:     hidden_global_offset_z
      - .offset:         96
        .size:           2
        .value_kind:     hidden_grid_dims
    .group_segment_fixed_size: 0
    .kernarg_segment_align: 8
    .kernarg_segment_size: 288
    .language:       OpenCL C
    .language_version:
      - 2
      - 0
    .max_flat_workgroup_size: 512
    .name:           _ZN7rocprim17ROCPRIM_304000_NS6detail16transform_kernelINS1_24wrapped_transform_configINS0_14default_configEN2at4cuda3cub6detail10OpaqueTypeILi8EEEEESA_PSA_SC_NS0_8identityISA_EEEEvT1_mT2_T3_
    .private_segment_fixed_size: 0
    .sgpr_count:     18
    .sgpr_spill_count: 0
    .symbol:         _ZN7rocprim17ROCPRIM_304000_NS6detail16transform_kernelINS1_24wrapped_transform_configINS0_14default_configEN2at4cuda3cub6detail10OpaqueTypeILi8EEEEESA_PSA_SC_NS0_8identityISA_EEEEvT1_mT2_T3_.kd
    .uniform_work_group_size: 1
    .uses_dynamic_stack: false
    .vgpr_count:     5
    .vgpr_spill_count: 0
    .wavefront_size: 32
    .workgroup_processor_mode: 1
  - .args:
      - .address_space:  global
        .offset:         0
        .size:           8
        .value_kind:     global_buffer
      - .offset:         8
        .size:           4
        .value_kind:     by_value
      - .offset:         12
        .size:           4
        .value_kind:     by_value
      - .address_space:  global
        .offset:         16
        .size:           8
        .value_kind:     global_buffer
      - .offset:         24
        .size:           2
        .value_kind:     by_value
      - .offset:         28
        .size:           4
        .value_kind:     by_value
    .group_segment_fixed_size: 0
    .kernarg_segment_align: 8
    .kernarg_segment_size: 32
    .language:       OpenCL C
    .language_version:
      - 2
      - 0
    .max_flat_workgroup_size: 128
    .name:           _ZN7rocprim17ROCPRIM_304000_NS6detail45device_block_merge_mergepath_partition_kernelINS1_37wrapped_merge_sort_block_merge_configINS0_14default_configEtN2at4cuda3cub6detail10OpaqueTypeILi8EEEEEPtjNS1_19radix_merge_compareILb1ELb1EtNS0_19identity_decomposerEEEEEvT0_T1_jPSH_T2_SH_
    .private_segment_fixed_size: 0
    .sgpr_count:     18
    .sgpr_spill_count: 0
    .symbol:         _ZN7rocprim17ROCPRIM_304000_NS6detail45device_block_merge_mergepath_partition_kernelINS1_37wrapped_merge_sort_block_merge_configINS0_14default_configEtN2at4cuda3cub6detail10OpaqueTypeILi8EEEEEPtjNS1_19radix_merge_compareILb1ELb1EtNS0_19identity_decomposerEEEEEvT0_T1_jPSH_T2_SH_.kd
    .uniform_work_group_size: 1
    .uses_dynamic_stack: false
    .vgpr_count:     16
    .vgpr_spill_count: 0
    .wavefront_size: 32
    .workgroup_processor_mode: 1
  - .args:
      - .address_space:  global
        .offset:         0
        .size:           8
        .value_kind:     global_buffer
      - .address_space:  global
        .offset:         8
        .size:           8
        .value_kind:     global_buffer
      - .address_space:  global
        .offset:         16
        .size:           8
        .value_kind:     global_buffer
      - .address_space:  global
        .offset:         24
        .size:           8
        .value_kind:     global_buffer
      - .offset:         32
        .size:           4
        .value_kind:     by_value
      - .offset:         36
        .size:           4
        .value_kind:     by_value
      - .offset:         40
        .size:           4
        .value_kind:     by_value
      - .offset:         44
        .size:           2
        .value_kind:     by_value
      - .address_space:  global
        .offset:         48
        .size:           8
        .value_kind:     global_buffer
      - .address_space:  global
        .offset:         56
        .size:           8
        .value_kind:     global_buffer
      - .offset:         64
        .size:           4
        .value_kind:     hidden_block_count_x
      - .offset:         68
        .size:           4
        .value_kind:     hidden_block_count_y
      - .offset:         72
        .size:           4
        .value_kind:     hidden_block_count_z
      - .offset:         76
        .size:           2
        .value_kind:     hidden_group_size_x
      - .offset:         78
        .size:           2
        .value_kind:     hidden_group_size_y
      - .offset:         80
        .size:           2
        .value_kind:     hidden_group_size_z
      - .offset:         82
        .size:           2
        .value_kind:     hidden_remainder_x
      - .offset:         84
        .size:           2
        .value_kind:     hidden_remainder_y
      - .offset:         86
        .size:           2
        .value_kind:     hidden_remainder_z
      - .offset:         104
        .size:           8
        .value_kind:     hidden_global_offset_x
      - .offset:         112
        .size:           8
        .value_kind:     hidden_global_offset_y
      - .offset:         120
        .size:           8
        .value_kind:     hidden_global_offset_z
      - .offset:         128
        .size:           2
        .value_kind:     hidden_grid_dims
    .group_segment_fixed_size: 8208
    .kernarg_segment_align: 8
    .kernarg_segment_size: 320
    .language:       OpenCL C
    .language_version:
      - 2
      - 0
    .max_flat_workgroup_size: 512
    .name:           _ZN7rocprim17ROCPRIM_304000_NS6detail35device_block_merge_mergepath_kernelINS1_37wrapped_merge_sort_block_merge_configINS0_14default_configEtN2at4cuda3cub6detail10OpaqueTypeILi8EEEEEPtSC_PSA_SD_jNS1_19radix_merge_compareILb1ELb1EtNS0_19identity_decomposerEEEEEvT0_T1_T2_T3_T4_SL_jT5_PKSL_NS1_7vsmem_tE
    .private_segment_fixed_size: 0
    .sgpr_count:     33
    .sgpr_spill_count: 0
    .symbol:         _ZN7rocprim17ROCPRIM_304000_NS6detail35device_block_merge_mergepath_kernelINS1_37wrapped_merge_sort_block_merge_configINS0_14default_configEtN2at4cuda3cub6detail10OpaqueTypeILi8EEEEEPtSC_PSA_SD_jNS1_19radix_merge_compareILb1ELb1EtNS0_19identity_decomposerEEEEEvT0_T1_T2_T3_T4_SL_jT5_PKSL_NS1_7vsmem_tE.kd
    .uniform_work_group_size: 1
    .uses_dynamic_stack: false
    .vgpr_count:     15
    .vgpr_spill_count: 0
    .wavefront_size: 32
    .workgroup_processor_mode: 1
  - .args:
      - .address_space:  global
        .offset:         0
        .size:           8
        .value_kind:     global_buffer
      - .address_space:  global
        .offset:         8
        .size:           8
        .value_kind:     global_buffer
      - .address_space:  global
        .offset:         16
        .size:           8
        .value_kind:     global_buffer
      - .address_space:  global
        .offset:         24
        .size:           8
        .value_kind:     global_buffer
      - .offset:         32
        .size:           4
        .value_kind:     by_value
      - .offset:         36
        .size:           4
        .value_kind:     by_value
      - .offset:         40
        .size:           2
        .value_kind:     by_value
    .group_segment_fixed_size: 0
    .kernarg_segment_align: 8
    .kernarg_segment_size: 44
    .language:       OpenCL C
    .language_version:
      - 2
      - 0
    .max_flat_workgroup_size: 256
    .name:           _ZN7rocprim17ROCPRIM_304000_NS6detail33device_block_merge_oddeven_kernelINS1_37wrapped_merge_sort_block_merge_configINS0_14default_configEtN2at4cuda3cub6detail10OpaqueTypeILi8EEEEEPtSC_PSA_SD_jNS1_19radix_merge_compareILb1ELb1EtNS0_19identity_decomposerEEEEEvT0_T1_T2_T3_T4_SL_T5_
    .private_segment_fixed_size: 0
    .sgpr_count:     24
    .sgpr_spill_count: 0
    .symbol:         _ZN7rocprim17ROCPRIM_304000_NS6detail33device_block_merge_oddeven_kernelINS1_37wrapped_merge_sort_block_merge_configINS0_14default_configEtN2at4cuda3cub6detail10OpaqueTypeILi8EEEEEPtSC_PSA_SD_jNS1_19radix_merge_compareILb1ELb1EtNS0_19identity_decomposerEEEEEvT0_T1_T2_T3_T4_SL_T5_.kd
    .uniform_work_group_size: 1
    .uses_dynamic_stack: false
    .vgpr_count:     12
    .vgpr_spill_count: 0
    .wavefront_size: 32
    .workgroup_processor_mode: 1
  - .args:
      - .address_space:  global
        .offset:         0
        .size:           8
        .value_kind:     global_buffer
      - .address_space:  global
        .offset:         8
        .size:           8
        .value_kind:     global_buffer
      - .offset:         16
        .size:           8
        .value_kind:     by_value
      - .offset:         24
        .size:           8
        .value_kind:     by_value
      - .offset:         32
        .size:           1
        .value_kind:     by_value
      - .offset:         36
        .size:           4
        .value_kind:     by_value
      - .offset:         40
        .size:           4
        .value_kind:     by_value
    .group_segment_fixed_size: 8192
    .kernarg_segment_align: 8
    .kernarg_segment_size: 44
    .language:       OpenCL C
    .language_version:
      - 2
      - 0
    .max_flat_workgroup_size: 1024
    .name:           _ZN7rocprim17ROCPRIM_304000_NS6detail26onesweep_histograms_kernelINS1_34wrapped_radix_sort_onesweep_configINS0_14default_configEtN2at4cuda3cub6detail10OpaqueTypeILi8EEEEELb1EPKtmNS0_19identity_decomposerEEEvT1_PT2_SG_SG_T3_jj
    .private_segment_fixed_size: 0
    .sgpr_count:     18
    .sgpr_spill_count: 0
    .symbol:         _ZN7rocprim17ROCPRIM_304000_NS6detail26onesweep_histograms_kernelINS1_34wrapped_radix_sort_onesweep_configINS0_14default_configEtN2at4cuda3cub6detail10OpaqueTypeILi8EEEEELb1EPKtmNS0_19identity_decomposerEEEvT1_PT2_SG_SG_T3_jj.kd
    .uniform_work_group_size: 1
    .uses_dynamic_stack: false
    .vgpr_count:     17
    .vgpr_spill_count: 0
    .wavefront_size: 32
    .workgroup_processor_mode: 1
  - .args:
      - .address_space:  global
        .offset:         0
        .size:           8
        .value_kind:     global_buffer
    .group_segment_fixed_size: 256
    .kernarg_segment_align: 8
    .kernarg_segment_size: 8
    .language:       OpenCL C
    .language_version:
      - 2
      - 0
    .max_flat_workgroup_size: 1024
    .name:           _ZN7rocprim17ROCPRIM_304000_NS6detail31onesweep_scan_histograms_kernelINS1_34wrapped_radix_sort_onesweep_configINS0_14default_configEtN2at4cuda3cub6detail10OpaqueTypeILi8EEEEEmEEvPT0_
    .private_segment_fixed_size: 0
    .sgpr_count:     18
    .sgpr_spill_count: 0
    .symbol:         _ZN7rocprim17ROCPRIM_304000_NS6detail31onesweep_scan_histograms_kernelINS1_34wrapped_radix_sort_onesweep_configINS0_14default_configEtN2at4cuda3cub6detail10OpaqueTypeILi8EEEEEmEEvPT0_.kd
    .uniform_work_group_size: 1
    .uses_dynamic_stack: false
    .vgpr_count:     10
    .vgpr_spill_count: 0
    .wavefront_size: 32
    .workgroup_processor_mode: 1
  - .args:
      - .address_space:  global
        .offset:         0
        .size:           8
        .value_kind:     global_buffer
      - .offset:         8
        .size:           8
        .value_kind:     by_value
      - .address_space:  global
        .offset:         16
        .size:           8
        .value_kind:     global_buffer
      - .offset:         24
        .size:           1
        .value_kind:     by_value
      - .offset:         32
        .size:           4
        .value_kind:     hidden_block_count_x
      - .offset:         36
        .size:           4
        .value_kind:     hidden_block_count_y
      - .offset:         40
        .size:           4
        .value_kind:     hidden_block_count_z
      - .offset:         44
        .size:           2
        .value_kind:     hidden_group_size_x
      - .offset:         46
        .size:           2
        .value_kind:     hidden_group_size_y
      - .offset:         48
        .size:           2
        .value_kind:     hidden_group_size_z
      - .offset:         50
        .size:           2
        .value_kind:     hidden_remainder_x
      - .offset:         52
        .size:           2
        .value_kind:     hidden_remainder_y
      - .offset:         54
        .size:           2
        .value_kind:     hidden_remainder_z
      - .offset:         72
        .size:           8
        .value_kind:     hidden_global_offset_x
      - .offset:         80
        .size:           8
        .value_kind:     hidden_global_offset_y
      - .offset:         88
        .size:           8
        .value_kind:     hidden_global_offset_z
      - .offset:         96
        .size:           2
        .value_kind:     hidden_grid_dims
    .group_segment_fixed_size: 0
    .kernarg_segment_align: 8
    .kernarg_segment_size: 288
    .language:       OpenCL C
    .language_version:
      - 2
      - 0
    .max_flat_workgroup_size: 1024
    .name:           _ZN7rocprim17ROCPRIM_304000_NS6detail16transform_kernelINS1_24wrapped_transform_configINS0_14default_configEtEEtPKtPtNS0_8identityItEEEEvT1_mT2_T3_
    .private_segment_fixed_size: 0
    .sgpr_count:     18
    .sgpr_spill_count: 0
    .symbol:         _ZN7rocprim17ROCPRIM_304000_NS6detail16transform_kernelINS1_24wrapped_transform_configINS0_14default_configEtEEtPKtPtNS0_8identityItEEEEvT1_mT2_T3_.kd
    .uniform_work_group_size: 1
    .uses_dynamic_stack: false
    .vgpr_count:     6
    .vgpr_spill_count: 0
    .wavefront_size: 32
    .workgroup_processor_mode: 1
  - .args:
      - .address_space:  global
        .offset:         0
        .size:           8
        .value_kind:     global_buffer
      - .offset:         8
        .size:           8
        .value_kind:     by_value
      - .address_space:  global
        .offset:         16
        .size:           8
        .value_kind:     global_buffer
      - .offset:         24
        .size:           1
        .value_kind:     by_value
      - .offset:         32
        .size:           4
        .value_kind:     hidden_block_count_x
      - .offset:         36
        .size:           4
        .value_kind:     hidden_block_count_y
      - .offset:         40
        .size:           4
        .value_kind:     hidden_block_count_z
      - .offset:         44
        .size:           2
        .value_kind:     hidden_group_size_x
      - .offset:         46
        .size:           2
        .value_kind:     hidden_group_size_y
      - .offset:         48
        .size:           2
        .value_kind:     hidden_group_size_z
      - .offset:         50
        .size:           2
        .value_kind:     hidden_remainder_x
      - .offset:         52
        .size:           2
        .value_kind:     hidden_remainder_y
      - .offset:         54
        .size:           2
        .value_kind:     hidden_remainder_z
      - .offset:         72
        .size:           8
        .value_kind:     hidden_global_offset_x
      - .offset:         80
        .size:           8
        .value_kind:     hidden_global_offset_y
      - .offset:         88
        .size:           8
        .value_kind:     hidden_global_offset_z
      - .offset:         96
        .size:           2
        .value_kind:     hidden_grid_dims
    .group_segment_fixed_size: 0
    .kernarg_segment_align: 8
    .kernarg_segment_size: 288
    .language:       OpenCL C
    .language_version:
      - 2
      - 0
    .max_flat_workgroup_size: 512
    .name:           _ZN7rocprim17ROCPRIM_304000_NS6detail16transform_kernelINS1_24wrapped_transform_configINS0_14default_configEN2at4cuda3cub6detail10OpaqueTypeILi8EEEEESA_PKSA_PSA_NS0_8identityISA_EEEEvT1_mT2_T3_
    .private_segment_fixed_size: 0
    .sgpr_count:     18
    .sgpr_spill_count: 0
    .symbol:         _ZN7rocprim17ROCPRIM_304000_NS6detail16transform_kernelINS1_24wrapped_transform_configINS0_14default_configEN2at4cuda3cub6detail10OpaqueTypeILi8EEEEESA_PKSA_PSA_NS0_8identityISA_EEEEvT1_mT2_T3_.kd
    .uniform_work_group_size: 1
    .uses_dynamic_stack: false
    .vgpr_count:     5
    .vgpr_spill_count: 0
    .wavefront_size: 32
    .workgroup_processor_mode: 1
  - .args:
      - .address_space:  global
        .offset:         0
        .size:           8
        .value_kind:     global_buffer
      - .address_space:  global
        .offset:         8
        .size:           8
        .value_kind:     global_buffer
      - .address_space:  global
        .offset:         16
        .size:           8
        .value_kind:     global_buffer
      - .address_space:  global
        .offset:         24
        .size:           8
        .value_kind:     global_buffer
      - .offset:         32
        .size:           4
        .value_kind:     by_value
      - .address_space:  global
        .offset:         40
        .size:           8
        .value_kind:     global_buffer
      - .address_space:  global
        .offset:         48
        .size:           8
        .value_kind:     global_buffer
      - .address_space:  global
        .offset:         56
        .size:           8
        .value_kind:     global_buffer
      - .offset:         64
        .size:           1
        .value_kind:     by_value
      - .offset:         68
        .size:           4
        .value_kind:     by_value
      - .offset:         72
        .size:           4
        .value_kind:     by_value
      - .offset:         76
        .size:           4
        .value_kind:     by_value
      - .offset:         80
        .size:           4
        .value_kind:     hidden_block_count_x
      - .offset:         84
        .size:           4
        .value_kind:     hidden_block_count_y
      - .offset:         88
        .size:           4
        .value_kind:     hidden_block_count_z
      - .offset:         92
        .size:           2
        .value_kind:     hidden_group_size_x
      - .offset:         94
        .size:           2
        .value_kind:     hidden_group_size_y
      - .offset:         96
        .size:           2
        .value_kind:     hidden_group_size_z
      - .offset:         98
        .size:           2
        .value_kind:     hidden_remainder_x
      - .offset:         100
        .size:           2
        .value_kind:     hidden_remainder_y
      - .offset:         102
        .size:           2
        .value_kind:     hidden_remainder_z
      - .offset:         120
        .size:           8
        .value_kind:     hidden_global_offset_x
      - .offset:         128
        .size:           8
        .value_kind:     hidden_global_offset_y
      - .offset:         136
        .size:           8
        .value_kind:     hidden_global_offset_z
      - .offset:         144
        .size:           2
        .value_kind:     hidden_grid_dims
    .group_segment_fixed_size: 36992
    .kernarg_segment_align: 8
    .kernarg_segment_size: 336
    .language:       OpenCL C
    .language_version:
      - 2
      - 0
    .max_flat_workgroup_size: 1024
    .name:           _ZN7rocprim17ROCPRIM_304000_NS6detail25onesweep_iteration_kernelINS1_34wrapped_radix_sort_onesweep_configINS0_14default_configEtN2at4cuda3cub6detail10OpaqueTypeILi8EEEEELb1EPKtPtPKSA_PSA_mNS0_19identity_decomposerEEEvT1_T2_T3_T4_jPT5_SO_PNS1_23onesweep_lookback_stateET6_jjj
    .private_segment_fixed_size: 0
    .sgpr_count:     38
    .sgpr_spill_count: 0
    .symbol:         _ZN7rocprim17ROCPRIM_304000_NS6detail25onesweep_iteration_kernelINS1_34wrapped_radix_sort_onesweep_configINS0_14default_configEtN2at4cuda3cub6detail10OpaqueTypeILi8EEEEELb1EPKtPtPKSA_PSA_mNS0_19identity_decomposerEEEvT1_T2_T3_T4_jPT5_SO_PNS1_23onesweep_lookback_stateET6_jjj.kd
    .uniform_work_group_size: 1
    .uses_dynamic_stack: false
    .vgpr_count:     44
    .vgpr_spill_count: 0
    .wavefront_size: 32
    .workgroup_processor_mode: 1
  - .args:
      - .address_space:  global
        .offset:         0
        .size:           8
        .value_kind:     global_buffer
      - .address_space:  global
        .offset:         8
        .size:           8
        .value_kind:     global_buffer
      - .address_space:  global
        .offset:         16
        .size:           8
        .value_kind:     global_buffer
      - .address_space:  global
        .offset:         24
        .size:           8
        .value_kind:     global_buffer
      - .offset:         32
        .size:           4
        .value_kind:     by_value
      - .address_space:  global
        .offset:         40
        .size:           8
        .value_kind:     global_buffer
      - .address_space:  global
        .offset:         48
        .size:           8
        .value_kind:     global_buffer
      - .address_space:  global
        .offset:         56
        .size:           8
        .value_kind:     global_buffer
      - .offset:         64
        .size:           1
        .value_kind:     by_value
      - .offset:         68
        .size:           4
        .value_kind:     by_value
      - .offset:         72
        .size:           4
        .value_kind:     by_value
      - .offset:         76
        .size:           4
        .value_kind:     by_value
      - .offset:         80
        .size:           4
        .value_kind:     hidden_block_count_x
      - .offset:         84
        .size:           4
        .value_kind:     hidden_block_count_y
      - .offset:         88
        .size:           4
        .value_kind:     hidden_block_count_z
      - .offset:         92
        .size:           2
        .value_kind:     hidden_group_size_x
      - .offset:         94
        .size:           2
        .value_kind:     hidden_group_size_y
      - .offset:         96
        .size:           2
        .value_kind:     hidden_group_size_z
      - .offset:         98
        .size:           2
        .value_kind:     hidden_remainder_x
      - .offset:         100
        .size:           2
        .value_kind:     hidden_remainder_y
      - .offset:         102
        .size:           2
        .value_kind:     hidden_remainder_z
      - .offset:         120
        .size:           8
        .value_kind:     hidden_global_offset_x
      - .offset:         128
        .size:           8
        .value_kind:     hidden_global_offset_y
      - .offset:         136
        .size:           8
        .value_kind:     hidden_global_offset_z
      - .offset:         144
        .size:           2
        .value_kind:     hidden_grid_dims
    .group_segment_fixed_size: 36992
    .kernarg_segment_align: 8
    .kernarg_segment_size: 336
    .language:       OpenCL C
    .language_version:
      - 2
      - 0
    .max_flat_workgroup_size: 1024
    .name:           _ZN7rocprim17ROCPRIM_304000_NS6detail25onesweep_iteration_kernelINS1_34wrapped_radix_sort_onesweep_configINS0_14default_configEtN2at4cuda3cub6detail10OpaqueTypeILi8EEEEELb1EPtSC_PSA_SD_mNS0_19identity_decomposerEEEvT1_T2_T3_T4_jPT5_SK_PNS1_23onesweep_lookback_stateET6_jjj
    .private_segment_fixed_size: 0
    .sgpr_count:     38
    .sgpr_spill_count: 0
    .symbol:         _ZN7rocprim17ROCPRIM_304000_NS6detail25onesweep_iteration_kernelINS1_34wrapped_radix_sort_onesweep_configINS0_14default_configEtN2at4cuda3cub6detail10OpaqueTypeILi8EEEEELb1EPtSC_PSA_SD_mNS0_19identity_decomposerEEEvT1_T2_T3_T4_jPT5_SK_PNS1_23onesweep_lookback_stateET6_jjj.kd
    .uniform_work_group_size: 1
    .uses_dynamic_stack: false
    .vgpr_count:     44
    .vgpr_spill_count: 0
    .wavefront_size: 32
    .workgroup_processor_mode: 1
  - .args:
      - .address_space:  global
        .offset:         0
        .size:           8
        .value_kind:     global_buffer
      - .address_space:  global
        .offset:         8
        .size:           8
        .value_kind:     global_buffer
      - .address_space:  global
        .offset:         16
        .size:           8
        .value_kind:     global_buffer
      - .address_space:  global
        .offset:         24
        .size:           8
        .value_kind:     global_buffer
      - .offset:         32
        .size:           4
        .value_kind:     by_value
      - .offset:         36
        .size:           1
        .value_kind:     by_value
      - .offset:         40
        .size:           4
        .value_kind:     by_value
      - .offset:         44
        .size:           4
        .value_kind:     by_value
      - .offset:         48
        .size:           4
        .value_kind:     hidden_block_count_x
      - .offset:         52
        .size:           4
        .value_kind:     hidden_block_count_y
      - .offset:         56
        .size:           4
        .value_kind:     hidden_block_count_z
      - .offset:         60
        .size:           2
        .value_kind:     hidden_group_size_x
      - .offset:         62
        .size:           2
        .value_kind:     hidden_group_size_y
      - .offset:         64
        .size:           2
        .value_kind:     hidden_group_size_z
      - .offset:         66
        .size:           2
        .value_kind:     hidden_remainder_x
      - .offset:         68
        .size:           2
        .value_kind:     hidden_remainder_y
      - .offset:         70
        .size:           2
        .value_kind:     hidden_remainder_z
      - .offset:         88
        .size:           8
        .value_kind:     hidden_global_offset_x
      - .offset:         96
        .size:           8
        .value_kind:     hidden_global_offset_y
      - .offset:         104
        .size:           8
        .value_kind:     hidden_global_offset_z
      - .offset:         112
        .size:           2
        .value_kind:     hidden_grid_dims
    .group_segment_fixed_size: 8224
    .kernarg_segment_align: 8
    .kernarg_segment_size: 304
    .language:       OpenCL C
    .language_version:
      - 2
      - 0
    .max_flat_workgroup_size: 256
    .name:           _ZN7rocprim17ROCPRIM_304000_NS6detail28radix_sort_block_sort_kernelINS1_36wrapped_radix_sort_block_sort_configINS0_13kernel_configILj256ELj4ELj4294967295EEEtN2at4cuda3cub6detail10OpaqueTypeILi8EEEEELb0EPKtPtPKSB_PSB_NS0_19identity_decomposerEEEvT1_T2_T3_T4_jT5_jj
    .private_segment_fixed_size: 0
    .sgpr_count:     34
    .sgpr_spill_count: 0
    .symbol:         _ZN7rocprim17ROCPRIM_304000_NS6detail28radix_sort_block_sort_kernelINS1_36wrapped_radix_sort_block_sort_configINS0_13kernel_configILj256ELj4ELj4294967295EEEtN2at4cuda3cub6detail10OpaqueTypeILi8EEEEELb0EPKtPtPKSB_PSB_NS0_19identity_decomposerEEEvT1_T2_T3_T4_jT5_jj.kd
    .uniform_work_group_size: 1
    .uses_dynamic_stack: false
    .vgpr_count:     54
    .vgpr_spill_count: 0
    .wavefront_size: 32
    .workgroup_processor_mode: 1
  - .args:
      - .address_space:  global
        .offset:         0
        .size:           8
        .value_kind:     global_buffer
      - .offset:         8
        .size:           4
        .value_kind:     by_value
      - .offset:         12
        .size:           4
        .value_kind:     by_value
      - .address_space:  global
        .offset:         16
        .size:           8
        .value_kind:     global_buffer
      - .offset:         24
        .size:           1
        .value_kind:     by_value
      - .offset:         28
        .size:           4
        .value_kind:     by_value
    .group_segment_fixed_size: 0
    .kernarg_segment_align: 8
    .kernarg_segment_size: 32
    .language:       OpenCL C
    .language_version:
      - 2
      - 0
    .max_flat_workgroup_size: 128
    .name:           _ZN7rocprim17ROCPRIM_304000_NS6detail45device_block_merge_mergepath_partition_kernelINS1_37wrapped_merge_sort_block_merge_configINS0_14default_configEtN2at4cuda3cub6detail10OpaqueTypeILi8EEEEEPtjNS1_19radix_merge_compareILb0ELb0EtNS0_19identity_decomposerEEEEEvT0_T1_jPSH_T2_SH_
    .private_segment_fixed_size: 0
    .sgpr_count:     18
    .sgpr_spill_count: 0
    .symbol:         _ZN7rocprim17ROCPRIM_304000_NS6detail45device_block_merge_mergepath_partition_kernelINS1_37wrapped_merge_sort_block_merge_configINS0_14default_configEtN2at4cuda3cub6detail10OpaqueTypeILi8EEEEEPtjNS1_19radix_merge_compareILb0ELb0EtNS0_19identity_decomposerEEEEEvT0_T1_jPSH_T2_SH_.kd
    .uniform_work_group_size: 1
    .uses_dynamic_stack: false
    .vgpr_count:     16
    .vgpr_spill_count: 0
    .wavefront_size: 32
    .workgroup_processor_mode: 1
  - .args:
      - .address_space:  global
        .offset:         0
        .size:           8
        .value_kind:     global_buffer
      - .address_space:  global
        .offset:         8
        .size:           8
        .value_kind:     global_buffer
      - .address_space:  global
        .offset:         16
        .size:           8
        .value_kind:     global_buffer
      - .address_space:  global
        .offset:         24
        .size:           8
        .value_kind:     global_buffer
      - .offset:         32
        .size:           4
        .value_kind:     by_value
      - .offset:         36
        .size:           4
        .value_kind:     by_value
      - .offset:         40
        .size:           4
        .value_kind:     by_value
      - .offset:         44
        .size:           1
        .value_kind:     by_value
      - .address_space:  global
        .offset:         48
        .size:           8
        .value_kind:     global_buffer
      - .address_space:  global
        .offset:         56
        .size:           8
        .value_kind:     global_buffer
      - .offset:         64
        .size:           4
        .value_kind:     hidden_block_count_x
      - .offset:         68
        .size:           4
        .value_kind:     hidden_block_count_y
      - .offset:         72
        .size:           4
        .value_kind:     hidden_block_count_z
      - .offset:         76
        .size:           2
        .value_kind:     hidden_group_size_x
      - .offset:         78
        .size:           2
        .value_kind:     hidden_group_size_y
      - .offset:         80
        .size:           2
        .value_kind:     hidden_group_size_z
      - .offset:         82
        .size:           2
        .value_kind:     hidden_remainder_x
      - .offset:         84
        .size:           2
        .value_kind:     hidden_remainder_y
      - .offset:         86
        .size:           2
        .value_kind:     hidden_remainder_z
      - .offset:         104
        .size:           8
        .value_kind:     hidden_global_offset_x
      - .offset:         112
        .size:           8
        .value_kind:     hidden_global_offset_y
      - .offset:         120
        .size:           8
        .value_kind:     hidden_global_offset_z
      - .offset:         128
        .size:           2
        .value_kind:     hidden_grid_dims
    .group_segment_fixed_size: 8208
    .kernarg_segment_align: 8
    .kernarg_segment_size: 320
    .language:       OpenCL C
    .language_version:
      - 2
      - 0
    .max_flat_workgroup_size: 512
    .name:           _ZN7rocprim17ROCPRIM_304000_NS6detail35device_block_merge_mergepath_kernelINS1_37wrapped_merge_sort_block_merge_configINS0_14default_configEtN2at4cuda3cub6detail10OpaqueTypeILi8EEEEEPtSC_PSA_SD_jNS1_19radix_merge_compareILb0ELb0EtNS0_19identity_decomposerEEEEEvT0_T1_T2_T3_T4_SL_jT5_PKSL_NS1_7vsmem_tE
    .private_segment_fixed_size: 0
    .sgpr_count:     32
    .sgpr_spill_count: 0
    .symbol:         _ZN7rocprim17ROCPRIM_304000_NS6detail35device_block_merge_mergepath_kernelINS1_37wrapped_merge_sort_block_merge_configINS0_14default_configEtN2at4cuda3cub6detail10OpaqueTypeILi8EEEEEPtSC_PSA_SD_jNS1_19radix_merge_compareILb0ELb0EtNS0_19identity_decomposerEEEEEvT0_T1_T2_T3_T4_SL_jT5_PKSL_NS1_7vsmem_tE.kd
    .uniform_work_group_size: 1
    .uses_dynamic_stack: false
    .vgpr_count:     15
    .vgpr_spill_count: 0
    .wavefront_size: 32
    .workgroup_processor_mode: 1
  - .args:
      - .address_space:  global
        .offset:         0
        .size:           8
        .value_kind:     global_buffer
      - .address_space:  global
        .offset:         8
        .size:           8
        .value_kind:     global_buffer
      - .address_space:  global
        .offset:         16
        .size:           8
        .value_kind:     global_buffer
      - .address_space:  global
        .offset:         24
        .size:           8
        .value_kind:     global_buffer
      - .offset:         32
        .size:           4
        .value_kind:     by_value
      - .offset:         36
        .size:           4
        .value_kind:     by_value
      - .offset:         40
        .size:           1
        .value_kind:     by_value
    .group_segment_fixed_size: 0
    .kernarg_segment_align: 8
    .kernarg_segment_size: 44
    .language:       OpenCL C
    .language_version:
      - 2
      - 0
    .max_flat_workgroup_size: 256
    .name:           _ZN7rocprim17ROCPRIM_304000_NS6detail33device_block_merge_oddeven_kernelINS1_37wrapped_merge_sort_block_merge_configINS0_14default_configEtN2at4cuda3cub6detail10OpaqueTypeILi8EEEEEPtSC_PSA_SD_jNS1_19radix_merge_compareILb0ELb0EtNS0_19identity_decomposerEEEEEvT0_T1_T2_T3_T4_SL_T5_
    .private_segment_fixed_size: 0
    .sgpr_count:     22
    .sgpr_spill_count: 0
    .symbol:         _ZN7rocprim17ROCPRIM_304000_NS6detail33device_block_merge_oddeven_kernelINS1_37wrapped_merge_sort_block_merge_configINS0_14default_configEtN2at4cuda3cub6detail10OpaqueTypeILi8EEEEEPtSC_PSA_SD_jNS1_19radix_merge_compareILb0ELb0EtNS0_19identity_decomposerEEEEEvT0_T1_T2_T3_T4_SL_T5_.kd
    .uniform_work_group_size: 1
    .uses_dynamic_stack: false
    .vgpr_count:     12
    .vgpr_spill_count: 0
    .wavefront_size: 32
    .workgroup_processor_mode: 1
  - .args:
      - .address_space:  global
        .offset:         0
        .size:           8
        .value_kind:     global_buffer
      - .offset:         8
        .size:           4
        .value_kind:     by_value
      - .offset:         12
        .size:           4
        .value_kind:     by_value
      - .address_space:  global
        .offset:         16
        .size:           8
        .value_kind:     global_buffer
      - .offset:         24
        .size:           2
        .value_kind:     by_value
      - .offset:         28
        .size:           4
        .value_kind:     by_value
    .group_segment_fixed_size: 0
    .kernarg_segment_align: 8
    .kernarg_segment_size: 32
    .language:       OpenCL C
    .language_version:
      - 2
      - 0
    .max_flat_workgroup_size: 128
    .name:           _ZN7rocprim17ROCPRIM_304000_NS6detail45device_block_merge_mergepath_partition_kernelINS1_37wrapped_merge_sort_block_merge_configINS0_14default_configEtN2at4cuda3cub6detail10OpaqueTypeILi8EEEEEPtjNS1_19radix_merge_compareILb0ELb1EtNS0_19identity_decomposerEEEEEvT0_T1_jPSH_T2_SH_
    .private_segment_fixed_size: 0
    .sgpr_count:     18
    .sgpr_spill_count: 0
    .symbol:         _ZN7rocprim17ROCPRIM_304000_NS6detail45device_block_merge_mergepath_partition_kernelINS1_37wrapped_merge_sort_block_merge_configINS0_14default_configEtN2at4cuda3cub6detail10OpaqueTypeILi8EEEEEPtjNS1_19radix_merge_compareILb0ELb1EtNS0_19identity_decomposerEEEEEvT0_T1_jPSH_T2_SH_.kd
    .uniform_work_group_size: 1
    .uses_dynamic_stack: false
    .vgpr_count:     16
    .vgpr_spill_count: 0
    .wavefront_size: 32
    .workgroup_processor_mode: 1
  - .args:
      - .address_space:  global
        .offset:         0
        .size:           8
        .value_kind:     global_buffer
      - .address_space:  global
        .offset:         8
        .size:           8
        .value_kind:     global_buffer
      - .address_space:  global
        .offset:         16
        .size:           8
        .value_kind:     global_buffer
      - .address_space:  global
        .offset:         24
        .size:           8
        .value_kind:     global_buffer
      - .offset:         32
        .size:           4
        .value_kind:     by_value
      - .offset:         36
        .size:           4
        .value_kind:     by_value
      - .offset:         40
        .size:           4
        .value_kind:     by_value
      - .offset:         44
        .size:           2
        .value_kind:     by_value
      - .address_space:  global
        .offset:         48
        .size:           8
        .value_kind:     global_buffer
      - .address_space:  global
        .offset:         56
        .size:           8
        .value_kind:     global_buffer
      - .offset:         64
        .size:           4
        .value_kind:     hidden_block_count_x
      - .offset:         68
        .size:           4
        .value_kind:     hidden_block_count_y
      - .offset:         72
        .size:           4
        .value_kind:     hidden_block_count_z
      - .offset:         76
        .size:           2
        .value_kind:     hidden_group_size_x
      - .offset:         78
        .size:           2
        .value_kind:     hidden_group_size_y
      - .offset:         80
        .size:           2
        .value_kind:     hidden_group_size_z
      - .offset:         82
        .size:           2
        .value_kind:     hidden_remainder_x
      - .offset:         84
        .size:           2
        .value_kind:     hidden_remainder_y
      - .offset:         86
        .size:           2
        .value_kind:     hidden_remainder_z
      - .offset:         104
        .size:           8
        .value_kind:     hidden_global_offset_x
      - .offset:         112
        .size:           8
        .value_kind:     hidden_global_offset_y
      - .offset:         120
        .size:           8
        .value_kind:     hidden_global_offset_z
      - .offset:         128
        .size:           2
        .value_kind:     hidden_grid_dims
    .group_segment_fixed_size: 8208
    .kernarg_segment_align: 8
    .kernarg_segment_size: 320
    .language:       OpenCL C
    .language_version:
      - 2
      - 0
    .max_flat_workgroup_size: 512
    .name:           _ZN7rocprim17ROCPRIM_304000_NS6detail35device_block_merge_mergepath_kernelINS1_37wrapped_merge_sort_block_merge_configINS0_14default_configEtN2at4cuda3cub6detail10OpaqueTypeILi8EEEEEPtSC_PSA_SD_jNS1_19radix_merge_compareILb0ELb1EtNS0_19identity_decomposerEEEEEvT0_T1_T2_T3_T4_SL_jT5_PKSL_NS1_7vsmem_tE
    .private_segment_fixed_size: 0
    .sgpr_count:     33
    .sgpr_spill_count: 0
    .symbol:         _ZN7rocprim17ROCPRIM_304000_NS6detail35device_block_merge_mergepath_kernelINS1_37wrapped_merge_sort_block_merge_configINS0_14default_configEtN2at4cuda3cub6detail10OpaqueTypeILi8EEEEEPtSC_PSA_SD_jNS1_19radix_merge_compareILb0ELb1EtNS0_19identity_decomposerEEEEEvT0_T1_T2_T3_T4_SL_jT5_PKSL_NS1_7vsmem_tE.kd
    .uniform_work_group_size: 1
    .uses_dynamic_stack: false
    .vgpr_count:     15
    .vgpr_spill_count: 0
    .wavefront_size: 32
    .workgroup_processor_mode: 1
  - .args:
      - .address_space:  global
        .offset:         0
        .size:           8
        .value_kind:     global_buffer
      - .address_space:  global
        .offset:         8
        .size:           8
        .value_kind:     global_buffer
      - .address_space:  global
        .offset:         16
        .size:           8
        .value_kind:     global_buffer
      - .address_space:  global
        .offset:         24
        .size:           8
        .value_kind:     global_buffer
      - .offset:         32
        .size:           4
        .value_kind:     by_value
      - .offset:         36
        .size:           4
        .value_kind:     by_value
      - .offset:         40
        .size:           2
        .value_kind:     by_value
    .group_segment_fixed_size: 0
    .kernarg_segment_align: 8
    .kernarg_segment_size: 44
    .language:       OpenCL C
    .language_version:
      - 2
      - 0
    .max_flat_workgroup_size: 256
    .name:           _ZN7rocprim17ROCPRIM_304000_NS6detail33device_block_merge_oddeven_kernelINS1_37wrapped_merge_sort_block_merge_configINS0_14default_configEtN2at4cuda3cub6detail10OpaqueTypeILi8EEEEEPtSC_PSA_SD_jNS1_19radix_merge_compareILb0ELb1EtNS0_19identity_decomposerEEEEEvT0_T1_T2_T3_T4_SL_T5_
    .private_segment_fixed_size: 0
    .sgpr_count:     24
    .sgpr_spill_count: 0
    .symbol:         _ZN7rocprim17ROCPRIM_304000_NS6detail33device_block_merge_oddeven_kernelINS1_37wrapped_merge_sort_block_merge_configINS0_14default_configEtN2at4cuda3cub6detail10OpaqueTypeILi8EEEEEPtSC_PSA_SD_jNS1_19radix_merge_compareILb0ELb1EtNS0_19identity_decomposerEEEEEvT0_T1_T2_T3_T4_SL_T5_.kd
    .uniform_work_group_size: 1
    .uses_dynamic_stack: false
    .vgpr_count:     12
    .vgpr_spill_count: 0
    .wavefront_size: 32
    .workgroup_processor_mode: 1
  - .args:
      - .address_space:  global
        .offset:         0
        .size:           8
        .value_kind:     global_buffer
      - .address_space:  global
        .offset:         8
        .size:           8
        .value_kind:     global_buffer
      - .offset:         16
        .size:           8
        .value_kind:     by_value
      - .offset:         24
        .size:           8
        .value_kind:     by_value
      - .offset:         32
        .size:           1
        .value_kind:     by_value
      - .offset:         36
        .size:           4
        .value_kind:     by_value
      - .offset:         40
        .size:           4
        .value_kind:     by_value
    .group_segment_fixed_size: 8192
    .kernarg_segment_align: 8
    .kernarg_segment_size: 44
    .language:       OpenCL C
    .language_version:
      - 2
      - 0
    .max_flat_workgroup_size: 1024
    .name:           _ZN7rocprim17ROCPRIM_304000_NS6detail26onesweep_histograms_kernelINS1_34wrapped_radix_sort_onesweep_configINS0_14default_configEtN2at4cuda3cub6detail10OpaqueTypeILi8EEEEELb0EPKtmNS0_19identity_decomposerEEEvT1_PT2_SG_SG_T3_jj
    .private_segment_fixed_size: 0
    .sgpr_count:     18
    .sgpr_spill_count: 0
    .symbol:         _ZN7rocprim17ROCPRIM_304000_NS6detail26onesweep_histograms_kernelINS1_34wrapped_radix_sort_onesweep_configINS0_14default_configEtN2at4cuda3cub6detail10OpaqueTypeILi8EEEEELb0EPKtmNS0_19identity_decomposerEEEvT1_PT2_SG_SG_T3_jj.kd
    .uniform_work_group_size: 1
    .uses_dynamic_stack: false
    .vgpr_count:     17
    .vgpr_spill_count: 0
    .wavefront_size: 32
    .workgroup_processor_mode: 1
  - .args:
      - .address_space:  global
        .offset:         0
        .size:           8
        .value_kind:     global_buffer
      - .address_space:  global
        .offset:         8
        .size:           8
        .value_kind:     global_buffer
      - .address_space:  global
        .offset:         16
        .size:           8
        .value_kind:     global_buffer
      - .address_space:  global
        .offset:         24
        .size:           8
        .value_kind:     global_buffer
      - .offset:         32
        .size:           4
        .value_kind:     by_value
      - .address_space:  global
        .offset:         40
        .size:           8
        .value_kind:     global_buffer
      - .address_space:  global
        .offset:         48
        .size:           8
        .value_kind:     global_buffer
      - .address_space:  global
        .offset:         56
        .size:           8
        .value_kind:     global_buffer
      - .offset:         64
        .size:           1
        .value_kind:     by_value
      - .offset:         68
        .size:           4
        .value_kind:     by_value
      - .offset:         72
        .size:           4
        .value_kind:     by_value
      - .offset:         76
        .size:           4
        .value_kind:     by_value
      - .offset:         80
        .size:           4
        .value_kind:     hidden_block_count_x
      - .offset:         84
        .size:           4
        .value_kind:     hidden_block_count_y
      - .offset:         88
        .size:           4
        .value_kind:     hidden_block_count_z
      - .offset:         92
        .size:           2
        .value_kind:     hidden_group_size_x
      - .offset:         94
        .size:           2
        .value_kind:     hidden_group_size_y
      - .offset:         96
        .size:           2
        .value_kind:     hidden_group_size_z
      - .offset:         98
        .size:           2
        .value_kind:     hidden_remainder_x
      - .offset:         100
        .size:           2
        .value_kind:     hidden_remainder_y
      - .offset:         102
        .size:           2
        .value_kind:     hidden_remainder_z
      - .offset:         120
        .size:           8
        .value_kind:     hidden_global_offset_x
      - .offset:         128
        .size:           8
        .value_kind:     hidden_global_offset_y
      - .offset:         136
        .size:           8
        .value_kind:     hidden_global_offset_z
      - .offset:         144
        .size:           2
        .value_kind:     hidden_grid_dims
    .group_segment_fixed_size: 36992
    .kernarg_segment_align: 8
    .kernarg_segment_size: 336
    .language:       OpenCL C
    .language_version:
      - 2
      - 0
    .max_flat_workgroup_size: 1024
    .name:           _ZN7rocprim17ROCPRIM_304000_NS6detail25onesweep_iteration_kernelINS1_34wrapped_radix_sort_onesweep_configINS0_14default_configEtN2at4cuda3cub6detail10OpaqueTypeILi8EEEEELb0EPKtPtPKSA_PSA_mNS0_19identity_decomposerEEEvT1_T2_T3_T4_jPT5_SO_PNS1_23onesweep_lookback_stateET6_jjj
    .private_segment_fixed_size: 0
    .sgpr_count:     38
    .sgpr_spill_count: 0
    .symbol:         _ZN7rocprim17ROCPRIM_304000_NS6detail25onesweep_iteration_kernelINS1_34wrapped_radix_sort_onesweep_configINS0_14default_configEtN2at4cuda3cub6detail10OpaqueTypeILi8EEEEELb0EPKtPtPKSA_PSA_mNS0_19identity_decomposerEEEvT1_T2_T3_T4_jPT5_SO_PNS1_23onesweep_lookback_stateET6_jjj.kd
    .uniform_work_group_size: 1
    .uses_dynamic_stack: false
    .vgpr_count:     43
    .vgpr_spill_count: 0
    .wavefront_size: 32
    .workgroup_processor_mode: 1
  - .args:
      - .address_space:  global
        .offset:         0
        .size:           8
        .value_kind:     global_buffer
      - .address_space:  global
        .offset:         8
        .size:           8
        .value_kind:     global_buffer
      - .address_space:  global
        .offset:         16
        .size:           8
        .value_kind:     global_buffer
      - .address_space:  global
        .offset:         24
        .size:           8
        .value_kind:     global_buffer
      - .offset:         32
        .size:           4
        .value_kind:     by_value
      - .address_space:  global
        .offset:         40
        .size:           8
        .value_kind:     global_buffer
      - .address_space:  global
        .offset:         48
        .size:           8
        .value_kind:     global_buffer
      - .address_space:  global
        .offset:         56
        .size:           8
        .value_kind:     global_buffer
      - .offset:         64
        .size:           1
        .value_kind:     by_value
      - .offset:         68
        .size:           4
        .value_kind:     by_value
      - .offset:         72
        .size:           4
        .value_kind:     by_value
      - .offset:         76
        .size:           4
        .value_kind:     by_value
      - .offset:         80
        .size:           4
        .value_kind:     hidden_block_count_x
      - .offset:         84
        .size:           4
        .value_kind:     hidden_block_count_y
      - .offset:         88
        .size:           4
        .value_kind:     hidden_block_count_z
      - .offset:         92
        .size:           2
        .value_kind:     hidden_group_size_x
      - .offset:         94
        .size:           2
        .value_kind:     hidden_group_size_y
      - .offset:         96
        .size:           2
        .value_kind:     hidden_group_size_z
      - .offset:         98
        .size:           2
        .value_kind:     hidden_remainder_x
      - .offset:         100
        .size:           2
        .value_kind:     hidden_remainder_y
      - .offset:         102
        .size:           2
        .value_kind:     hidden_remainder_z
      - .offset:         120
        .size:           8
        .value_kind:     hidden_global_offset_x
      - .offset:         128
        .size:           8
        .value_kind:     hidden_global_offset_y
      - .offset:         136
        .size:           8
        .value_kind:     hidden_global_offset_z
      - .offset:         144
        .size:           2
        .value_kind:     hidden_grid_dims
    .group_segment_fixed_size: 36992
    .kernarg_segment_align: 8
    .kernarg_segment_size: 336
    .language:       OpenCL C
    .language_version:
      - 2
      - 0
    .max_flat_workgroup_size: 1024
    .name:           _ZN7rocprim17ROCPRIM_304000_NS6detail25onesweep_iteration_kernelINS1_34wrapped_radix_sort_onesweep_configINS0_14default_configEtN2at4cuda3cub6detail10OpaqueTypeILi8EEEEELb0EPtSC_PSA_SD_mNS0_19identity_decomposerEEEvT1_T2_T3_T4_jPT5_SK_PNS1_23onesweep_lookback_stateET6_jjj
    .private_segment_fixed_size: 0
    .sgpr_count:     38
    .sgpr_spill_count: 0
    .symbol:         _ZN7rocprim17ROCPRIM_304000_NS6detail25onesweep_iteration_kernelINS1_34wrapped_radix_sort_onesweep_configINS0_14default_configEtN2at4cuda3cub6detail10OpaqueTypeILi8EEEEELb0EPtSC_PSA_SD_mNS0_19identity_decomposerEEEvT1_T2_T3_T4_jPT5_SK_PNS1_23onesweep_lookback_stateET6_jjj.kd
    .uniform_work_group_size: 1
    .uses_dynamic_stack: false
    .vgpr_count:     43
    .vgpr_spill_count: 0
    .wavefront_size: 32
    .workgroup_processor_mode: 1
amdhsa.target:   amdgcn-amd-amdhsa--gfx1100
amdhsa.version:
  - 1
  - 2
...

	.end_amdgpu_metadata
